;; amdgpu-corpus repo=ROCm/aiter kind=compiled arch=gfx1100 opt=O3
	.text
	.amdgcn_target "amdgcn-amd-amdhsa--gfx1100"
	.amdhsa_code_object_version 6
	.section	.text._ZN7ck_tileL11flush_cacheEv,"axG",@progbits,_ZN7ck_tileL11flush_cacheEv,comdat
	.globl	_ZN7ck_tileL11flush_cacheEv     ; -- Begin function _ZN7ck_tileL11flush_cacheEv
	.p2align	8
	.type	_ZN7ck_tileL11flush_cacheEv,@function
_ZN7ck_tileL11flush_cacheEv:            ; @_ZN7ck_tileL11flush_cacheEv
; %bb.0:
	;;#ASMSTART
	s_icache_inv 
	s_nop 0 
	s_nop 0 
	;; [unrolled: 1-line block ×16, first 2 shown]
	
	;;#ASMEND
	s_endpgm
	.section	.rodata,"a",@progbits
	.p2align	6, 0x0
	.amdhsa_kernel _ZN7ck_tileL11flush_cacheEv
		.amdhsa_group_segment_fixed_size 0
		.amdhsa_private_segment_fixed_size 0
		.amdhsa_kernarg_size 0
		.amdhsa_user_sgpr_count 15
		.amdhsa_user_sgpr_dispatch_ptr 0
		.amdhsa_user_sgpr_queue_ptr 0
		.amdhsa_user_sgpr_kernarg_segment_ptr 0
		.amdhsa_user_sgpr_dispatch_id 0
		.amdhsa_user_sgpr_private_segment_size 0
		.amdhsa_wavefront_size32 1
		.amdhsa_uses_dynamic_stack 0
		.amdhsa_enable_private_segment 0
		.amdhsa_system_sgpr_workgroup_id_x 1
		.amdhsa_system_sgpr_workgroup_id_y 0
		.amdhsa_system_sgpr_workgroup_id_z 0
		.amdhsa_system_sgpr_workgroup_info 0
		.amdhsa_system_vgpr_workitem_id 0
		.amdhsa_next_free_vgpr 1
		.amdhsa_next_free_sgpr 1
		.amdhsa_reserve_vcc 0
		.amdhsa_float_round_mode_32 0
		.amdhsa_float_round_mode_16_64 0
		.amdhsa_float_denorm_mode_32 3
		.amdhsa_float_denorm_mode_16_64 3
		.amdhsa_dx10_clamp 1
		.amdhsa_ieee_mode 1
		.amdhsa_fp16_overflow 0
		.amdhsa_workgroup_processor_mode 1
		.amdhsa_memory_ordered 1
		.amdhsa_forward_progress 0
		.amdhsa_shared_vgpr_count 0
		.amdhsa_exception_fp_ieee_invalid_op 0
		.amdhsa_exception_fp_denorm_src 0
		.amdhsa_exception_fp_ieee_div_zero 0
		.amdhsa_exception_fp_ieee_overflow 0
		.amdhsa_exception_fp_ieee_underflow 0
		.amdhsa_exception_fp_ieee_inexact 0
		.amdhsa_exception_int_div_zero 0
	.end_amdhsa_kernel
	.section	.text._ZN7ck_tileL11flush_cacheEv,"axG",@progbits,_ZN7ck_tileL11flush_cacheEv,comdat
.Lfunc_end0:
	.size	_ZN7ck_tileL11flush_cacheEv, .Lfunc_end0-_ZN7ck_tileL11flush_cacheEv
                                        ; -- End function
	.section	.AMDGPU.csdata,"",@progbits
; Kernel info:
; codeLenInByte = 344
; NumSgprs: 0
; NumVgprs: 0
; ScratchSize: 0
; MemoryBound: 0
; FloatMode: 240
; IeeeMode: 1
; LDSByteSize: 0 bytes/workgroup (compile time only)
; SGPRBlocks: 0
; VGPRBlocks: 0
; NumSGPRsForWavesPerEU: 1
; NumVGPRsForWavesPerEU: 1
; Occupancy: 16
; WaveLimiterHint : 0
; COMPUTE_PGM_RSRC2:SCRATCH_EN: 0
; COMPUTE_PGM_RSRC2:USER_SGPR: 15
; COMPUTE_PGM_RSRC2:TRAP_HANDLER: 0
; COMPUTE_PGM_RSRC2:TGID_X_EN: 1
; COMPUTE_PGM_RSRC2:TGID_Y_EN: 0
; COMPUTE_PGM_RSRC2:TGID_Z_EN: 0
; COMPUTE_PGM_RSRC2:TIDIG_COMP_CNT: 0
	.section	.text._ZN4vllm23rotary_embedding_kernelIfLb1ELb1EEEvPKlPT_S4_PKS3_S6_illiii,"axG",@progbits,_ZN4vllm23rotary_embedding_kernelIfLb1ELb1EEEvPKlPT_S4_PKS3_S6_illiii,comdat
	.protected	_ZN4vllm23rotary_embedding_kernelIfLb1ELb1EEEvPKlPT_S4_PKS3_S6_illiii ; -- Begin function _ZN4vllm23rotary_embedding_kernelIfLb1ELb1EEEvPKlPT_S4_PKS3_S6_illiii
	.globl	_ZN4vllm23rotary_embedding_kernelIfLb1ELb1EEEvPKlPT_S4_PKS3_S6_illiii
	.p2align	8
	.type	_ZN4vllm23rotary_embedding_kernelIfLb1ELb1EEEvPKlPT_S4_PKS3_S6_illiii,@function
_ZN4vllm23rotary_embedding_kernelIfLb1ELb1EEEvPKlPT_S4_PKS3_S6_illiii: ; @_ZN4vllm23rotary_embedding_kernelIfLb1ELb1EEEvPKlPT_S4_PKS3_S6_illiii
; %bb.0:
	s_clause 0x1
	s_load_b32 s22, s[0:1], 0x28
	s_load_b64 s[2:3], s[0:1], 0x0
	s_mov_b32 s16, s15
	s_ashr_i32 s17, s15, 31
	s_load_b128 s[12:15], s[0:1], 0x10
	s_lshl_b64 s[4:5], s[16:17], 3
	s_waitcnt lgkmcnt(0)
	s_ashr_i32 s6, s22, 31
	s_add_u32 s2, s2, s4
	s_addc_u32 s3, s3, s5
	s_load_b64 s[2:3], s[2:3], 0x0
	s_load_b64 s[20:21], s[0:1], 0x20
	s_waitcnt lgkmcnt(0)
	s_mul_i32 s4, s2, s6
	s_mul_hi_u32 s5, s2, s22
	s_mul_i32 s3, s3, s22
	s_add_i32 s18, s5, s4
	s_load_b256 s[4:11], s[0:1], 0x30
	s_add_i32 s18, s18, s3
	s_mul_i32 s2, s2, s22
	s_lshr_b32 s3, s18, 31
	s_delay_alu instid0(SALU_CYCLE_1) | instskip(SKIP_1) | instid1(SALU_CYCLE_1)
	s_add_u32 s2, s2, s3
	s_addc_u32 s3, s18, 0
	s_lshl_b64 s[2:3], s[2:3], 1
	s_delay_alu instid0(SALU_CYCLE_1)
	s_and_b32 s2, s2, -4
	s_waitcnt lgkmcnt(0)
	s_add_u32 s11, s14, s2
	s_addc_u32 s18, s15, s3
	s_add_u32 s19, s20, s2
	s_addc_u32 s20, s21, s3
	s_lshr_b32 s2, s22, 31
	s_mov_b32 s21, 0
	s_add_i32 s2, s22, s2
	s_delay_alu instid0(SALU_CYCLE_1)
	s_ashr_i32 s2, s2, 1
	s_sub_i32 s14, s10, s22
	s_mul_i32 s8, s2, s8
	s_ashr_i32 s15, s14, 31
	s_mov_b32 s22, exec_lo
	v_cmpx_gt_i32_e64 s8, v0
	s_cbranch_execz .LBB1_3
; %bb.1:
	s_clause 0x1
	s_load_b64 s[24:25], s[0:1], 0x8
	s_load_b32 s28, s[0:1], 0x5c
	s_lshl_b64 s[26:27], s[14:15], 2
	s_mul_i32 s3, s16, s5
	s_mul_hi_u32 s5, s16, s4
	s_mul_i32 s23, s17, s4
	s_mul_i32 s4, s16, s4
	s_waitcnt lgkmcnt(0)
	s_add_u32 s24, s24, s26
	s_addc_u32 s25, s25, s27
	s_add_i32 s3, s5, s3
	s_delay_alu instid0(SALU_CYCLE_1) | instskip(NEXT) | instid1(SALU_CYCLE_1)
	s_add_i32 s5, s3, s23
	s_lshl_b64 s[4:5], s[4:5], 2
	s_delay_alu instid0(SALU_CYCLE_1)
	s_add_u32 s23, s24, s4
	s_addc_u32 s24, s25, s5
	s_abs_i32 s25, s2
	s_and_b32 s26, s28, 0xffff
	v_cvt_f32_u32_e32 v1, s25
	s_sub_i32 s3, 0, s25
	s_sub_i32 s27, 0, s2
	s_delay_alu instid0(VALU_DEP_1) | instskip(SKIP_2) | instid1(VALU_DEP_1)
	v_rcp_iflag_f32_e32 v1, v1
	s_waitcnt_depctr 0xfff
	v_mul_f32_e32 v1, 0x4f7ffffe, v1
	v_cvt_u32_f32_e32 v1, v1
	s_delay_alu instid0(VALU_DEP_1) | instskip(SKIP_1) | instid1(SALU_CYCLE_1)
	v_mul_lo_u32 v2, s3, v1
	s_ashr_i32 s3, s2, 31
	s_lshl_b64 s[4:5], s[2:3], 2
	s_delay_alu instid0(VALU_DEP_1) | instskip(NEXT) | instid1(VALU_DEP_1)
	v_mul_hi_u32 v2, v1, v2
	v_dual_mov_b32 v1, v0 :: v_dual_add_nc_u32 v2, v1, v2
.LBB1_2:                                ; =>This Inner Loop Header: Depth=1
	s_delay_alu instid0(VALU_DEP_1) | instskip(SKIP_1) | instid1(VALU_DEP_2)
	v_sub_nc_u32_e32 v3, 0, v1
	v_ashrrev_i32_e32 v4, 31, v1
	v_max_i32_e32 v3, v1, v3
	s_delay_alu instid0(VALU_DEP_2) | instskip(NEXT) | instid1(VALU_DEP_2)
	v_xor_b32_e32 v4, s3, v4
	v_mul_hi_u32 v5, v3, v2
	s_delay_alu instid0(VALU_DEP_1) | instskip(SKIP_1) | instid1(VALU_DEP_2)
	v_mul_lo_u32 v6, v5, s25
	v_add_nc_u32_e32 v7, 1, v5
	v_sub_nc_u32_e32 v3, v3, v6
	s_delay_alu instid0(VALU_DEP_1) | instskip(SKIP_1) | instid1(VALU_DEP_4)
	v_subrev_nc_u32_e32 v6, s25, v3
	v_cmp_le_u32_e32 vcc_lo, s25, v3
	v_cndmask_b32_e32 v5, v5, v7, vcc_lo
	s_delay_alu instid0(VALU_DEP_1) | instskip(NEXT) | instid1(VALU_DEP_1)
	v_dual_cndmask_b32 v3, v3, v6 :: v_dual_add_nc_u32 v6, 1, v5
	v_cmp_le_u32_e32 vcc_lo, s25, v3
	s_delay_alu instid0(VALU_DEP_2) | instskip(NEXT) | instid1(VALU_DEP_1)
	v_cndmask_b32_e32 v3, v5, v6, vcc_lo
	v_xor_b32_e32 v3, v3, v4
	s_delay_alu instid0(VALU_DEP_1) | instskip(NEXT) | instid1(VALU_DEP_1)
	v_sub_nc_u32_e32 v4, v3, v4
	v_mul_lo_u32 v3, v4, s10
	v_mad_u64_u32 v[5:6], null, s27, v4, v[1:2]
	v_add_nc_u32_e32 v1, s26, v1
	s_delay_alu instid0(VALU_DEP_3) | instskip(NEXT) | instid1(VALU_DEP_3)
	v_ashrrev_i32_e32 v4, 31, v3
	v_ashrrev_i32_e32 v6, 31, v5
	s_delay_alu instid0(VALU_DEP_2) | instskip(NEXT) | instid1(VALU_DEP_2)
	v_lshlrev_b64 v[3:4], 2, v[3:4]
	v_lshlrev_b64 v[5:6], 2, v[5:6]
	s_delay_alu instid0(VALU_DEP_2) | instskip(NEXT) | instid1(VALU_DEP_3)
	v_add_co_u32 v9, vcc_lo, s23, v3
	v_add_co_ci_u32_e32 v10, vcc_lo, s24, v4, vcc_lo
	s_delay_alu instid0(VALU_DEP_3) | instskip(NEXT) | instid1(VALU_DEP_4)
	v_add_co_u32 v3, vcc_lo, s11, v5
	v_add_co_ci_u32_e32 v4, vcc_lo, s18, v6, vcc_lo
	v_add_co_u32 v7, vcc_lo, s19, v5
	v_add_co_ci_u32_e32 v8, vcc_lo, s20, v6, vcc_lo
	;; [unrolled: 2-line block ×3, first 2 shown]
	s_delay_alu instid0(VALU_DEP_2) | instskip(NEXT) | instid1(VALU_DEP_2)
	v_add_co_u32 v9, vcc_lo, v5, s4
	v_add_co_ci_u32_e32 v10, vcc_lo, s5, v6, vcc_lo
	global_load_b32 v3, v[3:4], off
	global_load_b32 v4, v[7:8], off
	s_clause 0x1
	global_load_b32 v7, v[5:6], off
	global_load_b32 v8, v[9:10], off
	v_cmp_le_i32_e32 vcc_lo, s8, v1
	s_or_b32 s21, vcc_lo, s21
	s_waitcnt vmcnt(0)
	v_mul_f32_e32 v11, v4, v8
	v_mul_f32_e32 v8, v3, v8
	s_delay_alu instid0(VALU_DEP_2) | instskip(NEXT) | instid1(VALU_DEP_2)
	v_fma_f32 v3, v3, v7, -v11
	v_fmac_f32_e32 v8, v4, v7
	s_clause 0x1
	global_store_b32 v[5:6], v3, off
	global_store_b32 v[9:10], v8, off
	s_and_not1_b32 exec_lo, exec_lo, s21
	s_cbranch_execnz .LBB1_2
.LBB1_3:
	s_or_b32 exec_lo, exec_lo, s22
	s_mul_i32 s4, s2, s9
	s_mov_b32 s3, exec_lo
	v_cmpx_gt_i32_e64 s4, v0
	s_cbranch_execz .LBB1_6
; %bb.4:
	s_lshl_b64 s[8:9], s[14:15], 2
	s_mul_i32 s3, s16, s7
	s_mul_hi_u32 s7, s16, s6
	s_add_u32 s5, s12, s8
	s_addc_u32 s8, s13, s9
	s_add_i32 s3, s7, s3
	s_mul_i32 s7, s17, s6
	s_mul_i32 s6, s16, s6
	s_add_i32 s7, s3, s7
	s_load_b32 s0, s[0:1], 0x5c
	s_lshl_b64 s[6:7], s[6:7], 2
	s_mov_b32 s9, 0
	s_add_u32 s5, s5, s6
	s_addc_u32 s6, s8, s7
	s_abs_i32 s7, s2
	s_ashr_i32 s3, s2, 31
	v_cvt_f32_u32_e32 v1, s7
	s_sub_i32 s1, 0, s7
	s_sub_i32 s12, 0, s2
	s_delay_alu instid0(VALU_DEP_1) | instskip(SKIP_4) | instid1(VALU_DEP_1)
	v_rcp_iflag_f32_e32 v1, v1
	s_waitcnt lgkmcnt(0)
	s_and_b32 s8, s0, 0xffff
	s_waitcnt_depctr 0xfff
	v_mul_f32_e32 v1, 0x4f7ffffe, v1
	v_cvt_u32_f32_e32 v1, v1
	s_delay_alu instid0(VALU_DEP_1) | instskip(SKIP_1) | instid1(VALU_DEP_1)
	v_mul_lo_u32 v2, s1, v1
	s_lshl_b64 s[0:1], s[2:3], 2
	v_mul_hi_u32 v2, v1, v2
	s_delay_alu instid0(VALU_DEP_1)
	v_add_nc_u32_e32 v1, v1, v2
.LBB1_5:                                ; =>This Inner Loop Header: Depth=1
	v_sub_nc_u32_e32 v2, 0, v0
	v_ashrrev_i32_e32 v3, 31, v0
	s_delay_alu instid0(VALU_DEP_2) | instskip(NEXT) | instid1(VALU_DEP_2)
	v_max_i32_e32 v2, v0, v2
	v_xor_b32_e32 v3, s3, v3
	s_delay_alu instid0(VALU_DEP_2) | instskip(NEXT) | instid1(VALU_DEP_1)
	v_mul_hi_u32 v4, v2, v1
	v_mul_lo_u32 v5, v4, s7
	v_add_nc_u32_e32 v6, 1, v4
	s_delay_alu instid0(VALU_DEP_2) | instskip(NEXT) | instid1(VALU_DEP_1)
	v_sub_nc_u32_e32 v2, v2, v5
	v_subrev_nc_u32_e32 v5, s7, v2
	v_cmp_le_u32_e32 vcc_lo, s7, v2
	s_delay_alu instid0(VALU_DEP_4) | instskip(NEXT) | instid1(VALU_DEP_1)
	v_cndmask_b32_e32 v4, v4, v6, vcc_lo
	v_dual_cndmask_b32 v2, v2, v5 :: v_dual_add_nc_u32 v5, 1, v4
	s_delay_alu instid0(VALU_DEP_1) | instskip(NEXT) | instid1(VALU_DEP_2)
	v_cmp_le_u32_e32 vcc_lo, s7, v2
	v_cndmask_b32_e32 v2, v4, v5, vcc_lo
	s_delay_alu instid0(VALU_DEP_1) | instskip(NEXT) | instid1(VALU_DEP_1)
	v_xor_b32_e32 v2, v2, v3
	v_sub_nc_u32_e32 v3, v2, v3
	s_delay_alu instid0(VALU_DEP_1) | instskip(SKIP_2) | instid1(VALU_DEP_3)
	v_mul_lo_u32 v2, v3, s10
	v_mad_u64_u32 v[4:5], null, s12, v3, v[0:1]
	v_add_nc_u32_e32 v0, s8, v0
	v_ashrrev_i32_e32 v3, 31, v2
	s_delay_alu instid0(VALU_DEP_3) | instskip(NEXT) | instid1(VALU_DEP_2)
	v_ashrrev_i32_e32 v5, 31, v4
	v_lshlrev_b64 v[2:3], 2, v[2:3]
	s_delay_alu instid0(VALU_DEP_2) | instskip(NEXT) | instid1(VALU_DEP_2)
	v_lshlrev_b64 v[4:5], 2, v[4:5]
	v_add_co_u32 v8, vcc_lo, s5, v2
	s_delay_alu instid0(VALU_DEP_3) | instskip(NEXT) | instid1(VALU_DEP_3)
	v_add_co_ci_u32_e32 v9, vcc_lo, s6, v3, vcc_lo
	v_add_co_u32 v2, vcc_lo, s11, v4
	s_delay_alu instid0(VALU_DEP_4) | instskip(SKIP_4) | instid1(VALU_DEP_2)
	v_add_co_ci_u32_e32 v3, vcc_lo, s18, v5, vcc_lo
	v_add_co_u32 v6, vcc_lo, s19, v4
	v_add_co_ci_u32_e32 v7, vcc_lo, s20, v5, vcc_lo
	v_add_co_u32 v4, vcc_lo, v8, v4
	;; [unrolled: 2-line block ×3, first 2 shown]
	s_delay_alu instid0(VALU_DEP_2)
	v_add_co_ci_u32_e32 v9, vcc_lo, s1, v5, vcc_lo
	global_load_b32 v2, v[2:3], off
	global_load_b32 v3, v[6:7], off
	s_clause 0x1
	global_load_b32 v6, v[4:5], off
	global_load_b32 v7, v[8:9], off
	v_cmp_le_i32_e32 vcc_lo, s4, v0
	s_or_b32 s9, vcc_lo, s9
	s_waitcnt vmcnt(0)
	v_mul_f32_e32 v10, v3, v7
	v_mul_f32_e32 v7, v2, v7
	s_delay_alu instid0(VALU_DEP_2) | instskip(NEXT) | instid1(VALU_DEP_2)
	v_fma_f32 v2, v2, v6, -v10
	v_fmac_f32_e32 v7, v3, v6
	s_clause 0x1
	global_store_b32 v[4:5], v2, off
	global_store_b32 v[8:9], v7, off
	s_and_not1_b32 exec_lo, exec_lo, s9
	s_cbranch_execnz .LBB1_5
.LBB1_6:
	s_nop 0
	s_sendmsg sendmsg(MSG_DEALLOC_VGPRS)
	s_endpgm
	.section	.rodata,"a",@progbits
	.p2align	6, 0x0
	.amdhsa_kernel _ZN4vllm23rotary_embedding_kernelIfLb1ELb1EEEvPKlPT_S4_PKS3_S6_illiii
		.amdhsa_group_segment_fixed_size 0
		.amdhsa_private_segment_fixed_size 0
		.amdhsa_kernarg_size 336
		.amdhsa_user_sgpr_count 15
		.amdhsa_user_sgpr_dispatch_ptr 0
		.amdhsa_user_sgpr_queue_ptr 0
		.amdhsa_user_sgpr_kernarg_segment_ptr 1
		.amdhsa_user_sgpr_dispatch_id 0
		.amdhsa_user_sgpr_private_segment_size 0
		.amdhsa_wavefront_size32 1
		.amdhsa_uses_dynamic_stack 0
		.amdhsa_enable_private_segment 0
		.amdhsa_system_sgpr_workgroup_id_x 1
		.amdhsa_system_sgpr_workgroup_id_y 0
		.amdhsa_system_sgpr_workgroup_id_z 0
		.amdhsa_system_sgpr_workgroup_info 0
		.amdhsa_system_vgpr_workitem_id 0
		.amdhsa_next_free_vgpr 12
		.amdhsa_next_free_sgpr 29
		.amdhsa_reserve_vcc 1
		.amdhsa_float_round_mode_32 0
		.amdhsa_float_round_mode_16_64 0
		.amdhsa_float_denorm_mode_32 3
		.amdhsa_float_denorm_mode_16_64 3
		.amdhsa_dx10_clamp 1
		.amdhsa_ieee_mode 1
		.amdhsa_fp16_overflow 0
		.amdhsa_workgroup_processor_mode 1
		.amdhsa_memory_ordered 1
		.amdhsa_forward_progress 0
		.amdhsa_shared_vgpr_count 0
		.amdhsa_exception_fp_ieee_invalid_op 0
		.amdhsa_exception_fp_denorm_src 0
		.amdhsa_exception_fp_ieee_div_zero 0
		.amdhsa_exception_fp_ieee_overflow 0
		.amdhsa_exception_fp_ieee_underflow 0
		.amdhsa_exception_fp_ieee_inexact 0
		.amdhsa_exception_int_div_zero 0
	.end_amdhsa_kernel
	.section	.text._ZN4vllm23rotary_embedding_kernelIfLb1ELb1EEEvPKlPT_S4_PKS3_S6_illiii,"axG",@progbits,_ZN4vllm23rotary_embedding_kernelIfLb1ELb1EEEvPKlPT_S4_PKS3_S6_illiii,comdat
.Lfunc_end1:
	.size	_ZN4vllm23rotary_embedding_kernelIfLb1ELb1EEEvPKlPT_S4_PKS3_S6_illiii, .Lfunc_end1-_ZN4vllm23rotary_embedding_kernelIfLb1ELb1EEEvPKlPT_S4_PKS3_S6_illiii
                                        ; -- End function
	.section	.AMDGPU.csdata,"",@progbits
; Kernel info:
; codeLenInByte = 1212
; NumSgprs: 31
; NumVgprs: 12
; ScratchSize: 0
; MemoryBound: 0
; FloatMode: 240
; IeeeMode: 1
; LDSByteSize: 0 bytes/workgroup (compile time only)
; SGPRBlocks: 3
; VGPRBlocks: 1
; NumSGPRsForWavesPerEU: 31
; NumVGPRsForWavesPerEU: 12
; Occupancy: 16
; WaveLimiterHint : 1
; COMPUTE_PGM_RSRC2:SCRATCH_EN: 0
; COMPUTE_PGM_RSRC2:USER_SGPR: 15
; COMPUTE_PGM_RSRC2:TRAP_HANDLER: 0
; COMPUTE_PGM_RSRC2:TGID_X_EN: 1
; COMPUTE_PGM_RSRC2:TGID_Y_EN: 0
; COMPUTE_PGM_RSRC2:TGID_Z_EN: 0
; COMPUTE_PGM_RSRC2:TIDIG_COMP_CNT: 0
	.section	.text._ZN4vllm23rotary_embedding_kernelIfLb1ELb0EEEvPKlPT_S4_PKS3_S6_illiii,"axG",@progbits,_ZN4vllm23rotary_embedding_kernelIfLb1ELb0EEEvPKlPT_S4_PKS3_S6_illiii,comdat
	.protected	_ZN4vllm23rotary_embedding_kernelIfLb1ELb0EEEvPKlPT_S4_PKS3_S6_illiii ; -- Begin function _ZN4vllm23rotary_embedding_kernelIfLb1ELb0EEEvPKlPT_S4_PKS3_S6_illiii
	.globl	_ZN4vllm23rotary_embedding_kernelIfLb1ELb0EEEvPKlPT_S4_PKS3_S6_illiii
	.p2align	8
	.type	_ZN4vllm23rotary_embedding_kernelIfLb1ELb0EEEvPKlPT_S4_PKS3_S6_illiii,@function
_ZN4vllm23rotary_embedding_kernelIfLb1ELb0EEEvPKlPT_S4_PKS3_S6_illiii: ; @_ZN4vllm23rotary_embedding_kernelIfLb1ELb0EEEvPKlPT_S4_PKS3_S6_illiii
; %bb.0:
	s_clause 0x1
	s_load_b32 s20, s[0:1], 0x28
	s_load_b64 s[2:3], s[0:1], 0x0
	s_mov_b32 s16, s15
	s_ashr_i32 s17, s15, 31
	s_load_b128 s[12:15], s[0:1], 0x10
	s_lshl_b64 s[4:5], s[16:17], 3
	s_waitcnt lgkmcnt(0)
	s_ashr_i32 s6, s20, 31
	s_add_u32 s2, s2, s4
	s_addc_u32 s3, s3, s5
	s_load_b64 s[2:3], s[2:3], 0x0
	s_load_b64 s[18:19], s[0:1], 0x20
	s_waitcnt lgkmcnt(0)
	s_mul_i32 s4, s2, s6
	s_mul_hi_u32 s5, s2, s20
	s_mul_i32 s3, s3, s20
	s_add_i32 s21, s5, s4
	s_load_b256 s[4:11], s[0:1], 0x30
	s_add_i32 s21, s21, s3
	s_mul_i32 s2, s2, s20
	s_lshr_b32 s3, s21, 31
	s_delay_alu instid0(SALU_CYCLE_1) | instskip(SKIP_1) | instid1(SALU_CYCLE_1)
	s_add_u32 s2, s2, s3
	s_addc_u32 s3, s21, 0
	s_lshl_b64 s[2:3], s[2:3], 1
	s_delay_alu instid0(SALU_CYCLE_1)
	s_and_b32 s2, s2, -4
	s_waitcnt lgkmcnt(0)
	s_add_u32 s11, s14, s2
	s_addc_u32 s14, s15, s3
	s_add_u32 s15, s18, s2
	s_addc_u32 s18, s19, s3
	s_lshr_b32 s2, s20, 31
	s_mov_b32 s19, exec_lo
	s_add_i32 s20, s20, s2
	s_delay_alu instid0(SALU_CYCLE_1) | instskip(SKIP_2) | instid1(SALU_CYCLE_1)
	s_ashr_i32 s2, s20, 1
	s_mov_b32 s20, 0
	s_mul_i32 s8, s2, s8
	v_cmpx_gt_i32_e64 s8, v0
	s_cbranch_execz .LBB2_3
; %bb.1:
	s_load_b64 s[22:23], s[0:1], 0x8
	s_mul_i32 s3, s16, s5
	s_mul_hi_u32 s5, s16, s4
	s_mul_i32 s21, s17, s4
	s_add_i32 s3, s5, s3
	s_mul_i32 s4, s16, s4
	s_add_i32 s5, s3, s21
	s_load_b32 s3, s[0:1], 0x5c
	s_lshl_b64 s[4:5], s[4:5], 2
	s_waitcnt lgkmcnt(0)
	s_add_u32 s21, s22, s4
	s_addc_u32 s22, s23, s5
	s_abs_i32 s23, s2
	s_sub_i32 s25, 0, s2
	v_cvt_f32_u32_e32 v1, s23
	s_sub_i32 s4, 0, s23
	s_and_b32 s24, s3, 0xffff
	s_ashr_i32 s3, s2, 31
	s_delay_alu instid0(VALU_DEP_1) | instskip(SKIP_2) | instid1(VALU_DEP_1)
	v_rcp_iflag_f32_e32 v1, v1
	s_waitcnt_depctr 0xfff
	v_mul_f32_e32 v1, 0x4f7ffffe, v1
	v_cvt_u32_f32_e32 v1, v1
	s_delay_alu instid0(VALU_DEP_1) | instskip(SKIP_1) | instid1(VALU_DEP_1)
	v_mul_lo_u32 v2, s4, v1
	s_lshl_b64 s[4:5], s[2:3], 2
	v_mul_hi_u32 v2, v1, v2
	s_delay_alu instid0(VALU_DEP_1)
	v_dual_mov_b32 v1, v0 :: v_dual_add_nc_u32 v2, v1, v2
.LBB2_2:                                ; =>This Inner Loop Header: Depth=1
	s_delay_alu instid0(VALU_DEP_1) | instskip(SKIP_1) | instid1(VALU_DEP_2)
	v_sub_nc_u32_e32 v3, 0, v1
	v_ashrrev_i32_e32 v4, 31, v1
	v_max_i32_e32 v3, v1, v3
	s_delay_alu instid0(VALU_DEP_2) | instskip(NEXT) | instid1(VALU_DEP_2)
	v_xor_b32_e32 v4, s3, v4
	v_mul_hi_u32 v5, v3, v2
	s_delay_alu instid0(VALU_DEP_1) | instskip(SKIP_1) | instid1(VALU_DEP_2)
	v_mul_lo_u32 v6, v5, s23
	v_add_nc_u32_e32 v7, 1, v5
	v_sub_nc_u32_e32 v3, v3, v6
	s_delay_alu instid0(VALU_DEP_1) | instskip(SKIP_1) | instid1(VALU_DEP_4)
	v_subrev_nc_u32_e32 v6, s23, v3
	v_cmp_le_u32_e32 vcc_lo, s23, v3
	v_cndmask_b32_e32 v5, v5, v7, vcc_lo
	s_delay_alu instid0(VALU_DEP_1) | instskip(NEXT) | instid1(VALU_DEP_1)
	v_dual_cndmask_b32 v3, v3, v6 :: v_dual_add_nc_u32 v6, 1, v5
	v_cmp_le_u32_e32 vcc_lo, s23, v3
	s_delay_alu instid0(VALU_DEP_2) | instskip(NEXT) | instid1(VALU_DEP_1)
	v_cndmask_b32_e32 v3, v5, v6, vcc_lo
	v_xor_b32_e32 v3, v3, v4
	s_delay_alu instid0(VALU_DEP_1) | instskip(NEXT) | instid1(VALU_DEP_1)
	v_sub_nc_u32_e32 v4, v3, v4
	v_mul_lo_u32 v3, v4, s10
	v_mad_u64_u32 v[5:6], null, s25, v4, v[1:2]
	v_add_nc_u32_e32 v1, s24, v1
	s_delay_alu instid0(VALU_DEP_3) | instskip(NEXT) | instid1(VALU_DEP_3)
	v_ashrrev_i32_e32 v4, 31, v3
	v_ashrrev_i32_e32 v6, 31, v5
	s_delay_alu instid0(VALU_DEP_2) | instskip(NEXT) | instid1(VALU_DEP_2)
	v_lshlrev_b64 v[3:4], 2, v[3:4]
	v_lshlrev_b64 v[5:6], 2, v[5:6]
	s_delay_alu instid0(VALU_DEP_2) | instskip(NEXT) | instid1(VALU_DEP_3)
	v_add_co_u32 v9, vcc_lo, s21, v3
	v_add_co_ci_u32_e32 v10, vcc_lo, s22, v4, vcc_lo
	s_delay_alu instid0(VALU_DEP_3) | instskip(NEXT) | instid1(VALU_DEP_4)
	v_add_co_u32 v3, vcc_lo, s11, v5
	v_add_co_ci_u32_e32 v4, vcc_lo, s14, v6, vcc_lo
	v_add_co_u32 v7, vcc_lo, s15, v5
	v_add_co_ci_u32_e32 v8, vcc_lo, s18, v6, vcc_lo
	;; [unrolled: 2-line block ×3, first 2 shown]
	s_delay_alu instid0(VALU_DEP_2) | instskip(NEXT) | instid1(VALU_DEP_2)
	v_add_co_u32 v9, vcc_lo, v5, s4
	v_add_co_ci_u32_e32 v10, vcc_lo, s5, v6, vcc_lo
	global_load_b32 v3, v[3:4], off
	global_load_b32 v4, v[7:8], off
	s_clause 0x1
	global_load_b32 v7, v[5:6], off
	global_load_b32 v8, v[9:10], off
	v_cmp_le_i32_e32 vcc_lo, s8, v1
	s_or_b32 s20, vcc_lo, s20
	s_waitcnt vmcnt(0)
	v_mul_f32_e32 v11, v4, v8
	v_mul_f32_e32 v8, v3, v8
	s_delay_alu instid0(VALU_DEP_2) | instskip(NEXT) | instid1(VALU_DEP_2)
	v_fma_f32 v3, v3, v7, -v11
	v_fmac_f32_e32 v8, v4, v7
	s_clause 0x1
	global_store_b32 v[5:6], v3, off
	global_store_b32 v[9:10], v8, off
	s_and_not1_b32 exec_lo, exec_lo, s20
	s_cbranch_execnz .LBB2_2
.LBB2_3:
	s_or_b32 exec_lo, exec_lo, s19
	s_mul_i32 s4, s2, s9
	s_mov_b32 s3, exec_lo
	v_cmpx_gt_i32_e64 s4, v0
	s_cbranch_execz .LBB2_6
; %bb.4:
	s_mul_i32 s3, s16, s7
	s_mul_hi_u32 s5, s16, s6
	s_load_b32 s0, s[0:1], 0x5c
	s_add_i32 s3, s5, s3
	s_mul_i32 s5, s17, s6
	s_mul_i32 s6, s16, s6
	s_add_i32 s7, s3, s5
	s_mov_b32 s9, 0
	s_lshl_b64 s[6:7], s[6:7], 2
	s_delay_alu instid0(SALU_CYCLE_1)
	s_add_u32 s5, s12, s6
	s_addc_u32 s6, s13, s7
	s_abs_i32 s7, s2
	s_ashr_i32 s3, s2, 31
	v_cvt_f32_u32_e32 v1, s7
	s_sub_i32 s1, 0, s7
	s_sub_i32 s12, 0, s2
	s_delay_alu instid0(VALU_DEP_1) | instskip(SKIP_4) | instid1(VALU_DEP_1)
	v_rcp_iflag_f32_e32 v1, v1
	s_waitcnt lgkmcnt(0)
	s_and_b32 s8, s0, 0xffff
	s_waitcnt_depctr 0xfff
	v_mul_f32_e32 v1, 0x4f7ffffe, v1
	v_cvt_u32_f32_e32 v1, v1
	s_delay_alu instid0(VALU_DEP_1) | instskip(SKIP_1) | instid1(VALU_DEP_1)
	v_mul_lo_u32 v2, s1, v1
	s_lshl_b64 s[0:1], s[2:3], 2
	v_mul_hi_u32 v2, v1, v2
	s_delay_alu instid0(VALU_DEP_1)
	v_add_nc_u32_e32 v1, v1, v2
.LBB2_5:                                ; =>This Inner Loop Header: Depth=1
	v_sub_nc_u32_e32 v2, 0, v0
	v_ashrrev_i32_e32 v3, 31, v0
	s_delay_alu instid0(VALU_DEP_2) | instskip(NEXT) | instid1(VALU_DEP_2)
	v_max_i32_e32 v2, v0, v2
	v_xor_b32_e32 v3, s3, v3
	s_delay_alu instid0(VALU_DEP_2) | instskip(NEXT) | instid1(VALU_DEP_1)
	v_mul_hi_u32 v4, v2, v1
	v_mul_lo_u32 v5, v4, s7
	v_add_nc_u32_e32 v6, 1, v4
	s_delay_alu instid0(VALU_DEP_2) | instskip(NEXT) | instid1(VALU_DEP_1)
	v_sub_nc_u32_e32 v2, v2, v5
	v_subrev_nc_u32_e32 v5, s7, v2
	v_cmp_le_u32_e32 vcc_lo, s7, v2
	s_delay_alu instid0(VALU_DEP_4) | instskip(NEXT) | instid1(VALU_DEP_1)
	v_cndmask_b32_e32 v4, v4, v6, vcc_lo
	v_dual_cndmask_b32 v2, v2, v5 :: v_dual_add_nc_u32 v5, 1, v4
	s_delay_alu instid0(VALU_DEP_1) | instskip(NEXT) | instid1(VALU_DEP_2)
	v_cmp_le_u32_e32 vcc_lo, s7, v2
	v_cndmask_b32_e32 v2, v4, v5, vcc_lo
	s_delay_alu instid0(VALU_DEP_1) | instskip(NEXT) | instid1(VALU_DEP_1)
	v_xor_b32_e32 v2, v2, v3
	v_sub_nc_u32_e32 v3, v2, v3
	s_delay_alu instid0(VALU_DEP_1) | instskip(SKIP_2) | instid1(VALU_DEP_3)
	v_mul_lo_u32 v2, v3, s10
	v_mad_u64_u32 v[4:5], null, s12, v3, v[0:1]
	v_add_nc_u32_e32 v0, s8, v0
	v_ashrrev_i32_e32 v3, 31, v2
	s_delay_alu instid0(VALU_DEP_3) | instskip(NEXT) | instid1(VALU_DEP_2)
	v_ashrrev_i32_e32 v5, 31, v4
	v_lshlrev_b64 v[2:3], 2, v[2:3]
	s_delay_alu instid0(VALU_DEP_2) | instskip(NEXT) | instid1(VALU_DEP_2)
	v_lshlrev_b64 v[4:5], 2, v[4:5]
	v_add_co_u32 v8, vcc_lo, s5, v2
	s_delay_alu instid0(VALU_DEP_3) | instskip(NEXT) | instid1(VALU_DEP_3)
	v_add_co_ci_u32_e32 v9, vcc_lo, s6, v3, vcc_lo
	v_add_co_u32 v2, vcc_lo, s11, v4
	s_delay_alu instid0(VALU_DEP_4) | instskip(SKIP_4) | instid1(VALU_DEP_2)
	v_add_co_ci_u32_e32 v3, vcc_lo, s14, v5, vcc_lo
	v_add_co_u32 v6, vcc_lo, s15, v4
	v_add_co_ci_u32_e32 v7, vcc_lo, s18, v5, vcc_lo
	v_add_co_u32 v4, vcc_lo, v8, v4
	;; [unrolled: 2-line block ×3, first 2 shown]
	s_delay_alu instid0(VALU_DEP_2)
	v_add_co_ci_u32_e32 v9, vcc_lo, s1, v5, vcc_lo
	global_load_b32 v2, v[2:3], off
	global_load_b32 v3, v[6:7], off
	s_clause 0x1
	global_load_b32 v6, v[4:5], off
	global_load_b32 v7, v[8:9], off
	v_cmp_le_i32_e32 vcc_lo, s4, v0
	s_or_b32 s9, vcc_lo, s9
	s_waitcnt vmcnt(0)
	v_mul_f32_e32 v10, v3, v7
	v_mul_f32_e32 v7, v2, v7
	s_delay_alu instid0(VALU_DEP_2) | instskip(NEXT) | instid1(VALU_DEP_2)
	v_fma_f32 v2, v2, v6, -v10
	v_fmac_f32_e32 v7, v3, v6
	s_clause 0x1
	global_store_b32 v[4:5], v2, off
	global_store_b32 v[8:9], v7, off
	s_and_not1_b32 exec_lo, exec_lo, s9
	s_cbranch_execnz .LBB2_5
.LBB2_6:
	s_nop 0
	s_sendmsg sendmsg(MSG_DEALLOC_VGPRS)
	s_endpgm
	.section	.rodata,"a",@progbits
	.p2align	6, 0x0
	.amdhsa_kernel _ZN4vllm23rotary_embedding_kernelIfLb1ELb0EEEvPKlPT_S4_PKS3_S6_illiii
		.amdhsa_group_segment_fixed_size 0
		.amdhsa_private_segment_fixed_size 0
		.amdhsa_kernarg_size 336
		.amdhsa_user_sgpr_count 15
		.amdhsa_user_sgpr_dispatch_ptr 0
		.amdhsa_user_sgpr_queue_ptr 0
		.amdhsa_user_sgpr_kernarg_segment_ptr 1
		.amdhsa_user_sgpr_dispatch_id 0
		.amdhsa_user_sgpr_private_segment_size 0
		.amdhsa_wavefront_size32 1
		.amdhsa_uses_dynamic_stack 0
		.amdhsa_enable_private_segment 0
		.amdhsa_system_sgpr_workgroup_id_x 1
		.amdhsa_system_sgpr_workgroup_id_y 0
		.amdhsa_system_sgpr_workgroup_id_z 0
		.amdhsa_system_sgpr_workgroup_info 0
		.amdhsa_system_vgpr_workitem_id 0
		.amdhsa_next_free_vgpr 12
		.amdhsa_next_free_sgpr 26
		.amdhsa_reserve_vcc 1
		.amdhsa_float_round_mode_32 0
		.amdhsa_float_round_mode_16_64 0
		.amdhsa_float_denorm_mode_32 3
		.amdhsa_float_denorm_mode_16_64 3
		.amdhsa_dx10_clamp 1
		.amdhsa_ieee_mode 1
		.amdhsa_fp16_overflow 0
		.amdhsa_workgroup_processor_mode 1
		.amdhsa_memory_ordered 1
		.amdhsa_forward_progress 0
		.amdhsa_shared_vgpr_count 0
		.amdhsa_exception_fp_ieee_invalid_op 0
		.amdhsa_exception_fp_denorm_src 0
		.amdhsa_exception_fp_ieee_div_zero 0
		.amdhsa_exception_fp_ieee_overflow 0
		.amdhsa_exception_fp_ieee_underflow 0
		.amdhsa_exception_fp_ieee_inexact 0
		.amdhsa_exception_int_div_zero 0
	.end_amdhsa_kernel
	.section	.text._ZN4vllm23rotary_embedding_kernelIfLb1ELb0EEEvPKlPT_S4_PKS3_S6_illiii,"axG",@progbits,_ZN4vllm23rotary_embedding_kernelIfLb1ELb0EEEvPKlPT_S4_PKS3_S6_illiii,comdat
.Lfunc_end2:
	.size	_ZN4vllm23rotary_embedding_kernelIfLb1ELb0EEEvPKlPT_S4_PKS3_S6_illiii, .Lfunc_end2-_ZN4vllm23rotary_embedding_kernelIfLb1ELb0EEEvPKlPT_S4_PKS3_S6_illiii
                                        ; -- End function
	.section	.AMDGPU.csdata,"",@progbits
; Kernel info:
; codeLenInByte = 1172
; NumSgprs: 28
; NumVgprs: 12
; ScratchSize: 0
; MemoryBound: 0
; FloatMode: 240
; IeeeMode: 1
; LDSByteSize: 0 bytes/workgroup (compile time only)
; SGPRBlocks: 3
; VGPRBlocks: 1
; NumSGPRsForWavesPerEU: 28
; NumVGPRsForWavesPerEU: 12
; Occupancy: 16
; WaveLimiterHint : 1
; COMPUTE_PGM_RSRC2:SCRATCH_EN: 0
; COMPUTE_PGM_RSRC2:USER_SGPR: 15
; COMPUTE_PGM_RSRC2:TRAP_HANDLER: 0
; COMPUTE_PGM_RSRC2:TGID_X_EN: 1
; COMPUTE_PGM_RSRC2:TGID_Y_EN: 0
; COMPUTE_PGM_RSRC2:TGID_Z_EN: 0
; COMPUTE_PGM_RSRC2:TIDIG_COMP_CNT: 0
	.section	.text._ZN4vllm23rotary_embedding_kernelIfLb0ELb1EEEvPKlPT_S4_PKS3_S6_illiii,"axG",@progbits,_ZN4vllm23rotary_embedding_kernelIfLb0ELb1EEEvPKlPT_S4_PKS3_S6_illiii,comdat
	.protected	_ZN4vllm23rotary_embedding_kernelIfLb0ELb1EEEvPKlPT_S4_PKS3_S6_illiii ; -- Begin function _ZN4vllm23rotary_embedding_kernelIfLb0ELb1EEEvPKlPT_S4_PKS3_S6_illiii
	.globl	_ZN4vllm23rotary_embedding_kernelIfLb0ELb1EEEvPKlPT_S4_PKS3_S6_illiii
	.p2align	8
	.type	_ZN4vllm23rotary_embedding_kernelIfLb0ELb1EEEvPKlPT_S4_PKS3_S6_illiii,@function
_ZN4vllm23rotary_embedding_kernelIfLb0ELb1EEEvPKlPT_S4_PKS3_S6_illiii: ; @_ZN4vllm23rotary_embedding_kernelIfLb0ELb1EEEvPKlPT_S4_PKS3_S6_illiii
; %bb.0:
	s_clause 0x1
	s_load_b32 s22, s[0:1], 0x28
	s_load_b64 s[4:5], s[0:1], 0x0
	s_mov_b32 s2, s15
	s_ashr_i32 s3, s15, 31
	s_load_b128 s[12:15], s[0:1], 0x10
	s_lshl_b64 s[6:7], s[2:3], 3
	v_lshlrev_b32_e32 v1, 1, v0
	s_waitcnt lgkmcnt(0)
	s_ashr_i32 s8, s22, 31
	s_add_u32 s4, s4, s6
	s_addc_u32 s5, s5, s7
	s_load_b64 s[16:17], s[4:5], 0x0
	s_load_b64 s[18:19], s[0:1], 0x20
	s_waitcnt lgkmcnt(0)
	s_mul_i32 s4, s16, s8
	s_mul_hi_u32 s5, s16, s22
	s_mul_i32 s17, s17, s22
	s_add_i32 s20, s5, s4
	s_load_b256 s[4:11], s[0:1], 0x30
	s_add_i32 s20, s20, s17
	s_waitcnt lgkmcnt(0)
	s_mul_i32 s11, s16, s22
	s_lshr_b32 s16, s20, 31
	s_delay_alu instid0(SALU_CYCLE_1) | instskip(SKIP_1) | instid1(SALU_CYCLE_1)
	s_add_u32 s16, s11, s16
	s_addc_u32 s17, s20, 0
	s_lshl_b64 s[20:21], s[16:17], 1
	s_delay_alu instid0(SALU_CYCLE_1)
	s_and_b32 s17, s20, -4
	s_mov_b32 s20, 0
	s_add_u32 s11, s14, s17
	s_addc_u32 s16, s15, s21
	s_add_u32 s17, s18, s17
	s_addc_u32 s18, s19, s21
	s_lshr_b32 s14, s22, 31
	s_mov_b32 s21, exec_lo
	s_add_i32 s14, s22, s14
	s_delay_alu instid0(SALU_CYCLE_1)
	s_ashr_i32 s19, s14, 1
	s_sub_i32 s14, s10, s22
	s_mul_i32 s8, s19, s8
	s_ashr_i32 s15, s14, 31
	v_cmpx_gt_i32_e64 s8, v0
	s_cbranch_execz .LBB3_3
; %bb.1:
	s_clause 0x1
	s_load_b64 s[22:23], s[0:1], 0x8
	s_load_b32 s28, s[0:1], 0x5c
	s_lshl_b64 s[24:25], s[14:15], 2
	s_mul_i32 s5, s2, s5
	s_mul_hi_u32 s26, s2, s4
	s_mul_i32 s27, s3, s4
	s_mul_i32 s4, s2, s4
	s_waitcnt lgkmcnt(0)
	s_add_u32 s22, s22, s24
	s_addc_u32 s23, s23, s25
	s_add_i32 s5, s26, s5
	s_delay_alu instid0(SALU_CYCLE_1) | instskip(NEXT) | instid1(SALU_CYCLE_1)
	s_add_i32 s5, s5, s27
	s_lshl_b64 s[4:5], s[4:5], 2
	s_delay_alu instid0(SALU_CYCLE_1)
	s_add_u32 s4, s22, s4
	s_addc_u32 s5, s23, s5
	s_abs_i32 s22, s19
	s_lshl_b32 s25, s19, 1
	v_cvt_f32_u32_e32 v2, s22
	s_sub_i32 s23, 0, s22
	s_ashr_i32 s24, s19, 31
	s_sub_i32 s25, 0, s25
	s_sub_i32 s27, 0, s19
	v_rcp_iflag_f32_e32 v2, v2
	s_waitcnt_depctr 0xfff
	v_mul_f32_e32 v2, 0x4f7ffffe, v2
	s_delay_alu instid0(VALU_DEP_1) | instskip(NEXT) | instid1(VALU_DEP_1)
	v_cvt_u32_f32_e32 v3, v2
	v_mul_lo_u32 v2, s23, v3
	s_and_b32 s23, s28, 0xffff
	s_delay_alu instid0(SALU_CYCLE_1) | instskip(NEXT) | instid1(VALU_DEP_1)
	s_lshl_b32 s26, s23, 1
	v_mul_hi_u32 v4, v3, v2
	v_lshlrev_b32_e32 v2, 1, v0
	s_delay_alu instid0(VALU_DEP_2)
	v_dual_mov_b32 v3, v0 :: v_dual_add_nc_u32 v4, v3, v4
.LBB3_2:                                ; =>This Inner Loop Header: Depth=1
	s_delay_alu instid0(VALU_DEP_1) | instskip(SKIP_1) | instid1(VALU_DEP_2)
	v_sub_nc_u32_e32 v5, 0, v3
	v_ashrrev_i32_e32 v6, 31, v3
	v_max_i32_e32 v5, v3, v5
	s_delay_alu instid0(VALU_DEP_2) | instskip(NEXT) | instid1(VALU_DEP_2)
	v_xor_b32_e32 v6, s24, v6
	v_mul_hi_u32 v7, v5, v4
	s_delay_alu instid0(VALU_DEP_1) | instskip(SKIP_1) | instid1(VALU_DEP_2)
	v_mul_lo_u32 v8, v7, s22
	v_add_nc_u32_e32 v9, 1, v7
	v_sub_nc_u32_e32 v5, v5, v8
	s_delay_alu instid0(VALU_DEP_1) | instskip(SKIP_1) | instid1(VALU_DEP_4)
	v_subrev_nc_u32_e32 v8, s22, v5
	v_cmp_le_u32_e32 vcc_lo, s22, v5
	v_cndmask_b32_e32 v7, v7, v9, vcc_lo
	s_delay_alu instid0(VALU_DEP_1) | instskip(NEXT) | instid1(VALU_DEP_1)
	v_dual_cndmask_b32 v5, v5, v8 :: v_dual_add_nc_u32 v8, 1, v7
	v_cmp_le_u32_e32 vcc_lo, s22, v5
	s_delay_alu instid0(VALU_DEP_2) | instskip(NEXT) | instid1(VALU_DEP_1)
	v_cndmask_b32_e32 v5, v7, v8, vcc_lo
	v_xor_b32_e32 v5, v5, v6
	s_delay_alu instid0(VALU_DEP_1) | instskip(NEXT) | instid1(VALU_DEP_1)
	v_sub_nc_u32_e32 v6, v5, v6
	v_mul_lo_u32 v5, v6, s10
	v_mad_u64_u32 v[7:8], null, s27, v6, v[3:4]
	v_mad_u64_u32 v[9:10], null, s25, v6, v[2:3]
	v_add_nc_u32_e32 v3, s23, v3
	v_add_nc_u32_e32 v2, s26, v2
	v_ashrrev_i32_e32 v6, 31, v5
	v_ashrrev_i32_e32 v8, 31, v7
	;; [unrolled: 1-line block ×3, first 2 shown]
	s_delay_alu instid0(VALU_DEP_3) | instskip(NEXT) | instid1(VALU_DEP_3)
	v_lshlrev_b64 v[5:6], 2, v[5:6]
	v_lshlrev_b64 v[7:8], 2, v[7:8]
	s_delay_alu instid0(VALU_DEP_3) | instskip(NEXT) | instid1(VALU_DEP_3)
	v_lshlrev_b64 v[9:10], 2, v[9:10]
	v_add_co_u32 v11, vcc_lo, s4, v5
	s_delay_alu instid0(VALU_DEP_4) | instskip(NEXT) | instid1(VALU_DEP_4)
	v_add_co_ci_u32_e32 v12, vcc_lo, s5, v6, vcc_lo
	v_add_co_u32 v5, vcc_lo, s11, v7
	v_add_co_ci_u32_e32 v6, vcc_lo, s16, v8, vcc_lo
	v_add_co_u32 v7, vcc_lo, s17, v7
	v_add_co_ci_u32_e32 v8, vcc_lo, s18, v8, vcc_lo
	v_add_co_u32 v9, vcc_lo, v11, v9
	v_add_co_ci_u32_e32 v10, vcc_lo, v12, v10, vcc_lo
	global_load_b32 v11, v[5:6], off
	global_load_b32 v8, v[7:8], off
	global_load_b64 v[5:6], v[9:10], off
	v_cmp_le_i32_e32 vcc_lo, s8, v3
	s_or_b32 s20, vcc_lo, s20
	s_waitcnt vmcnt(0)
	v_mul_f32_e32 v12, v8, v6
	v_mul_f32_e32 v7, v11, v6
	s_delay_alu instid0(VALU_DEP_2) | instskip(NEXT) | instid1(VALU_DEP_2)
	v_fma_f32 v6, v11, v5, -v12
	v_fmac_f32_e32 v7, v8, v5
	global_store_b64 v[9:10], v[6:7], off
	s_and_not1_b32 exec_lo, exec_lo, s20
	s_cbranch_execnz .LBB3_2
.LBB3_3:
	s_or_b32 exec_lo, exec_lo, s21
	s_mul_i32 s4, s19, s9
	s_mov_b32 s5, exec_lo
	v_cmpx_gt_i32_e64 s4, v0
	s_cbranch_execz .LBB3_6
; %bb.4:
	s_lshl_b64 s[8:9], s[14:15], 2
	s_mul_i32 s5, s2, s7
	s_add_u32 s7, s12, s8
	s_mul_hi_u32 s8, s2, s6
	s_addc_u32 s9, s13, s9
	s_add_i32 s5, s8, s5
	s_mul_i32 s3, s3, s6
	s_mul_i32 s2, s2, s6
	s_add_i32 s3, s5, s3
	s_load_b32 s0, s[0:1], 0x5c
	s_lshl_b64 s[2:3], s[2:3], 2
	s_mov_b32 s6, 0
	s_add_u32 s2, s7, s2
	s_addc_u32 s3, s9, s3
	s_abs_i32 s5, s19
	s_lshl_b32 s7, s19, 1
	v_cvt_f32_u32_e32 v2, s5
	s_sub_i32 s1, 0, s5
	s_sub_i32 s7, 0, s7
	;; [unrolled: 1-line block ×3, first 2 shown]
	s_delay_alu instid0(VALU_DEP_1)
	v_rcp_iflag_f32_e32 v2, v2
	s_waitcnt lgkmcnt(0)
	s_and_b32 s0, s0, 0xffff
	s_waitcnt_depctr 0xfff
	v_mul_f32_e32 v2, 0x4f7ffffe, v2
	s_lshl_b32 s8, s0, 1
	s_delay_alu instid0(VALU_DEP_1) | instskip(NEXT) | instid1(VALU_DEP_1)
	v_cvt_u32_f32_e32 v2, v2
	v_mul_lo_u32 v3, s1, v2
	s_ashr_i32 s1, s19, 31
	s_delay_alu instid0(VALU_DEP_1) | instskip(NEXT) | instid1(VALU_DEP_1)
	v_mul_hi_u32 v3, v2, v3
	v_add_nc_u32_e32 v2, v2, v3
.LBB3_5:                                ; =>This Inner Loop Header: Depth=1
	v_sub_nc_u32_e32 v3, 0, v0
	v_ashrrev_i32_e32 v4, 31, v0
	s_delay_alu instid0(VALU_DEP_2) | instskip(NEXT) | instid1(VALU_DEP_2)
	v_max_i32_e32 v3, v0, v3
	v_xor_b32_e32 v4, s1, v4
	s_delay_alu instid0(VALU_DEP_2) | instskip(NEXT) | instid1(VALU_DEP_1)
	v_mul_hi_u32 v5, v3, v2
	v_mul_lo_u32 v6, v5, s5
	v_add_nc_u32_e32 v7, 1, v5
	s_delay_alu instid0(VALU_DEP_2) | instskip(NEXT) | instid1(VALU_DEP_1)
	v_sub_nc_u32_e32 v3, v3, v6
	v_subrev_nc_u32_e32 v6, s5, v3
	v_cmp_le_u32_e32 vcc_lo, s5, v3
	s_delay_alu instid0(VALU_DEP_4) | instskip(NEXT) | instid1(VALU_DEP_1)
	v_cndmask_b32_e32 v5, v5, v7, vcc_lo
	v_dual_cndmask_b32 v3, v3, v6 :: v_dual_add_nc_u32 v6, 1, v5
	s_delay_alu instid0(VALU_DEP_1) | instskip(NEXT) | instid1(VALU_DEP_2)
	v_cmp_le_u32_e32 vcc_lo, s5, v3
	v_cndmask_b32_e32 v3, v5, v6, vcc_lo
	s_delay_alu instid0(VALU_DEP_1) | instskip(NEXT) | instid1(VALU_DEP_1)
	v_xor_b32_e32 v3, v3, v4
	v_sub_nc_u32_e32 v4, v3, v4
	s_delay_alu instid0(VALU_DEP_1)
	v_mul_lo_u32 v3, v4, s10
	v_mad_u64_u32 v[5:6], null, s9, v4, v[0:1]
	v_mad_u64_u32 v[7:8], null, s7, v4, v[1:2]
	v_add_nc_u32_e32 v0, s0, v0
	v_add_nc_u32_e32 v1, s8, v1
	v_ashrrev_i32_e32 v4, 31, v3
	v_ashrrev_i32_e32 v6, 31, v5
	;; [unrolled: 1-line block ×3, first 2 shown]
	s_delay_alu instid0(VALU_DEP_3) | instskip(NEXT) | instid1(VALU_DEP_3)
	v_lshlrev_b64 v[3:4], 2, v[3:4]
	v_lshlrev_b64 v[5:6], 2, v[5:6]
	s_delay_alu instid0(VALU_DEP_3) | instskip(NEXT) | instid1(VALU_DEP_3)
	v_lshlrev_b64 v[7:8], 2, v[7:8]
	v_add_co_u32 v9, vcc_lo, s2, v3
	s_delay_alu instid0(VALU_DEP_4) | instskip(NEXT) | instid1(VALU_DEP_4)
	v_add_co_ci_u32_e32 v10, vcc_lo, s3, v4, vcc_lo
	v_add_co_u32 v3, vcc_lo, s11, v5
	v_add_co_ci_u32_e32 v4, vcc_lo, s16, v6, vcc_lo
	v_add_co_u32 v5, vcc_lo, s17, v5
	;; [unrolled: 2-line block ×3, first 2 shown]
	v_add_co_ci_u32_e32 v8, vcc_lo, v10, v8, vcc_lo
	global_load_b32 v9, v[3:4], off
	global_load_b32 v6, v[5:6], off
	global_load_b64 v[3:4], v[7:8], off
	v_cmp_le_i32_e32 vcc_lo, s4, v0
	s_or_b32 s6, vcc_lo, s6
	s_waitcnt vmcnt(0)
	v_mul_f32_e32 v10, v6, v4
	v_mul_f32_e32 v5, v9, v4
	s_delay_alu instid0(VALU_DEP_2) | instskip(NEXT) | instid1(VALU_DEP_2)
	v_fma_f32 v4, v9, v3, -v10
	v_fmac_f32_e32 v5, v6, v3
	global_store_b64 v[7:8], v[4:5], off
	s_and_not1_b32 exec_lo, exec_lo, s6
	s_cbranch_execnz .LBB3_5
.LBB3_6:
	s_nop 0
	s_sendmsg sendmsg(MSG_DEALLOC_VGPRS)
	s_endpgm
	.section	.rodata,"a",@progbits
	.p2align	6, 0x0
	.amdhsa_kernel _ZN4vllm23rotary_embedding_kernelIfLb0ELb1EEEvPKlPT_S4_PKS3_S6_illiii
		.amdhsa_group_segment_fixed_size 0
		.amdhsa_private_segment_fixed_size 0
		.amdhsa_kernarg_size 336
		.amdhsa_user_sgpr_count 15
		.amdhsa_user_sgpr_dispatch_ptr 0
		.amdhsa_user_sgpr_queue_ptr 0
		.amdhsa_user_sgpr_kernarg_segment_ptr 1
		.amdhsa_user_sgpr_dispatch_id 0
		.amdhsa_user_sgpr_private_segment_size 0
		.amdhsa_wavefront_size32 1
		.amdhsa_uses_dynamic_stack 0
		.amdhsa_enable_private_segment 0
		.amdhsa_system_sgpr_workgroup_id_x 1
		.amdhsa_system_sgpr_workgroup_id_y 0
		.amdhsa_system_sgpr_workgroup_id_z 0
		.amdhsa_system_sgpr_workgroup_info 0
		.amdhsa_system_vgpr_workitem_id 0
		.amdhsa_next_free_vgpr 13
		.amdhsa_next_free_sgpr 29
		.amdhsa_reserve_vcc 1
		.amdhsa_float_round_mode_32 0
		.amdhsa_float_round_mode_16_64 0
		.amdhsa_float_denorm_mode_32 3
		.amdhsa_float_denorm_mode_16_64 3
		.amdhsa_dx10_clamp 1
		.amdhsa_ieee_mode 1
		.amdhsa_fp16_overflow 0
		.amdhsa_workgroup_processor_mode 1
		.amdhsa_memory_ordered 1
		.amdhsa_forward_progress 0
		.amdhsa_shared_vgpr_count 0
		.amdhsa_exception_fp_ieee_invalid_op 0
		.amdhsa_exception_fp_denorm_src 0
		.amdhsa_exception_fp_ieee_div_zero 0
		.amdhsa_exception_fp_ieee_overflow 0
		.amdhsa_exception_fp_ieee_underflow 0
		.amdhsa_exception_fp_ieee_inexact 0
		.amdhsa_exception_int_div_zero 0
	.end_amdhsa_kernel
	.section	.text._ZN4vllm23rotary_embedding_kernelIfLb0ELb1EEEvPKlPT_S4_PKS3_S6_illiii,"axG",@progbits,_ZN4vllm23rotary_embedding_kernelIfLb0ELb1EEEvPKlPT_S4_PKS3_S6_illiii,comdat
.Lfunc_end3:
	.size	_ZN4vllm23rotary_embedding_kernelIfLb0ELb1EEEvPKlPT_S4_PKS3_S6_illiii, .Lfunc_end3-_ZN4vllm23rotary_embedding_kernelIfLb0ELb1EEEvPKlPT_S4_PKS3_S6_illiii
                                        ; -- End function
	.section	.AMDGPU.csdata,"",@progbits
; Kernel info:
; codeLenInByte = 1196
; NumSgprs: 31
; NumVgprs: 13
; ScratchSize: 0
; MemoryBound: 0
; FloatMode: 240
; IeeeMode: 1
; LDSByteSize: 0 bytes/workgroup (compile time only)
; SGPRBlocks: 3
; VGPRBlocks: 1
; NumSGPRsForWavesPerEU: 31
; NumVGPRsForWavesPerEU: 13
; Occupancy: 16
; WaveLimiterHint : 1
; COMPUTE_PGM_RSRC2:SCRATCH_EN: 0
; COMPUTE_PGM_RSRC2:USER_SGPR: 15
; COMPUTE_PGM_RSRC2:TRAP_HANDLER: 0
; COMPUTE_PGM_RSRC2:TGID_X_EN: 1
; COMPUTE_PGM_RSRC2:TGID_Y_EN: 0
; COMPUTE_PGM_RSRC2:TGID_Z_EN: 0
; COMPUTE_PGM_RSRC2:TIDIG_COMP_CNT: 0
	.section	.text._ZN4vllm23rotary_embedding_kernelIfLb0ELb0EEEvPKlPT_S4_PKS3_S6_illiii,"axG",@progbits,_ZN4vllm23rotary_embedding_kernelIfLb0ELb0EEEvPKlPT_S4_PKS3_S6_illiii,comdat
	.protected	_ZN4vllm23rotary_embedding_kernelIfLb0ELb0EEEvPKlPT_S4_PKS3_S6_illiii ; -- Begin function _ZN4vllm23rotary_embedding_kernelIfLb0ELb0EEEvPKlPT_S4_PKS3_S6_illiii
	.globl	_ZN4vllm23rotary_embedding_kernelIfLb0ELb0EEEvPKlPT_S4_PKS3_S6_illiii
	.p2align	8
	.type	_ZN4vllm23rotary_embedding_kernelIfLb0ELb0EEEvPKlPT_S4_PKS3_S6_illiii,@function
_ZN4vllm23rotary_embedding_kernelIfLb0ELb0EEEvPKlPT_S4_PKS3_S6_illiii: ; @_ZN4vllm23rotary_embedding_kernelIfLb0ELb0EEEvPKlPT_S4_PKS3_S6_illiii
; %bb.0:
	s_clause 0x1
	s_load_b32 s20, s[0:1], 0x28
	s_load_b64 s[4:5], s[0:1], 0x0
	s_mov_b32 s2, s15
	s_ashr_i32 s3, s15, 31
	s_load_b128 s[12:15], s[0:1], 0x10
	s_lshl_b64 s[6:7], s[2:3], 3
	v_lshlrev_b32_e32 v1, 1, v0
	s_waitcnt lgkmcnt(0)
	s_ashr_i32 s8, s20, 31
	s_add_u32 s4, s4, s6
	s_addc_u32 s5, s5, s7
	s_load_b64 s[16:17], s[4:5], 0x0
	s_load_b64 s[18:19], s[0:1], 0x20
	s_waitcnt lgkmcnt(0)
	s_mul_i32 s4, s16, s8
	s_mul_hi_u32 s5, s16, s20
	s_mul_i32 s17, s17, s20
	s_add_i32 s21, s5, s4
	s_load_b256 s[4:11], s[0:1], 0x30
	s_add_i32 s21, s21, s17
	s_waitcnt lgkmcnt(0)
	s_mul_i32 s11, s16, s20
	s_lshr_b32 s16, s21, 31
	s_delay_alu instid0(SALU_CYCLE_1) | instskip(SKIP_1) | instid1(SALU_CYCLE_1)
	s_add_u32 s16, s11, s16
	s_addc_u32 s17, s21, 0
	s_lshl_b64 s[16:17], s[16:17], 1
	s_delay_alu instid0(SALU_CYCLE_1) | instskip(NEXT) | instid1(SALU_CYCLE_1)
	s_and_b32 s16, s16, -4
	s_add_u32 s11, s14, s16
	s_addc_u32 s14, s15, s17
	s_add_u32 s15, s18, s16
	s_addc_u32 s16, s19, s17
	s_lshr_b32 s17, s20, 31
	s_mov_b32 s19, 0
	s_add_i32 s20, s20, s17
	s_mov_b32 s18, exec_lo
	s_ashr_i32 s17, s20, 1
	s_delay_alu instid0(SALU_CYCLE_1) | instskip(NEXT) | instid1(SALU_CYCLE_1)
	s_mul_i32 s8, s17, s8
	v_cmpx_gt_i32_e64 s8, v0
	s_cbranch_execz .LBB4_3
; %bb.1:
	s_load_b64 s[20:21], s[0:1], 0x8
	s_mul_i32 s5, s2, s5
	s_mul_hi_u32 s22, s2, s4
	s_mul_i32 s23, s3, s4
	s_add_i32 s5, s22, s5
	s_load_b32 s22, s[0:1], 0x5c
	s_mul_i32 s4, s2, s4
	s_add_i32 s5, s5, s23
	s_delay_alu instid0(SALU_CYCLE_1)
	s_lshl_b64 s[4:5], s[4:5], 2
	s_waitcnt lgkmcnt(0)
	s_add_u32 s4, s20, s4
	s_addc_u32 s5, s21, s5
	s_abs_i32 s20, s17
	s_lshl_b32 s23, s17, 1
	v_cvt_f32_u32_e32 v2, s20
	s_sub_i32 s21, 0, s20
	s_sub_i32 s23, 0, s23
	;; [unrolled: 1-line block ×3, first 2 shown]
	s_delay_alu instid0(VALU_DEP_1) | instskip(SKIP_2) | instid1(VALU_DEP_1)
	v_rcp_iflag_f32_e32 v2, v2
	s_waitcnt_depctr 0xfff
	v_mul_f32_e32 v2, 0x4f7ffffe, v2
	v_cvt_u32_f32_e32 v3, v2
	s_delay_alu instid0(VALU_DEP_1) | instskip(SKIP_3) | instid1(VALU_DEP_1)
	v_mul_lo_u32 v2, s21, v3
	s_and_b32 s21, s22, 0xffff
	s_ashr_i32 s22, s17, 31
	s_lshl_b32 s24, s21, 1
	v_mul_hi_u32 v4, v3, v2
	v_lshlrev_b32_e32 v2, 1, v0
	s_delay_alu instid0(VALU_DEP_2)
	v_dual_mov_b32 v3, v0 :: v_dual_add_nc_u32 v4, v3, v4
.LBB4_2:                                ; =>This Inner Loop Header: Depth=1
	s_delay_alu instid0(VALU_DEP_1) | instskip(SKIP_1) | instid1(VALU_DEP_2)
	v_sub_nc_u32_e32 v5, 0, v3
	v_ashrrev_i32_e32 v6, 31, v3
	v_max_i32_e32 v5, v3, v5
	s_delay_alu instid0(VALU_DEP_2) | instskip(NEXT) | instid1(VALU_DEP_2)
	v_xor_b32_e32 v6, s22, v6
	v_mul_hi_u32 v7, v5, v4
	s_delay_alu instid0(VALU_DEP_1) | instskip(SKIP_1) | instid1(VALU_DEP_2)
	v_mul_lo_u32 v8, v7, s20
	v_add_nc_u32_e32 v9, 1, v7
	v_sub_nc_u32_e32 v5, v5, v8
	s_delay_alu instid0(VALU_DEP_1) | instskip(SKIP_1) | instid1(VALU_DEP_4)
	v_subrev_nc_u32_e32 v8, s20, v5
	v_cmp_le_u32_e32 vcc_lo, s20, v5
	v_cndmask_b32_e32 v7, v7, v9, vcc_lo
	s_delay_alu instid0(VALU_DEP_1) | instskip(NEXT) | instid1(VALU_DEP_1)
	v_dual_cndmask_b32 v5, v5, v8 :: v_dual_add_nc_u32 v8, 1, v7
	v_cmp_le_u32_e32 vcc_lo, s20, v5
	s_delay_alu instid0(VALU_DEP_2) | instskip(NEXT) | instid1(VALU_DEP_1)
	v_cndmask_b32_e32 v5, v7, v8, vcc_lo
	v_xor_b32_e32 v5, v5, v6
	s_delay_alu instid0(VALU_DEP_1) | instskip(NEXT) | instid1(VALU_DEP_1)
	v_sub_nc_u32_e32 v6, v5, v6
	v_mul_lo_u32 v5, v6, s10
	v_mad_u64_u32 v[7:8], null, s25, v6, v[3:4]
	v_mad_u64_u32 v[9:10], null, s23, v6, v[2:3]
	v_add_nc_u32_e32 v3, s21, v3
	v_add_nc_u32_e32 v2, s24, v2
	v_ashrrev_i32_e32 v6, 31, v5
	v_ashrrev_i32_e32 v8, 31, v7
	;; [unrolled: 1-line block ×3, first 2 shown]
	s_delay_alu instid0(VALU_DEP_3) | instskip(NEXT) | instid1(VALU_DEP_3)
	v_lshlrev_b64 v[5:6], 2, v[5:6]
	v_lshlrev_b64 v[7:8], 2, v[7:8]
	s_delay_alu instid0(VALU_DEP_3) | instskip(NEXT) | instid1(VALU_DEP_3)
	v_lshlrev_b64 v[9:10], 2, v[9:10]
	v_add_co_u32 v11, vcc_lo, s4, v5
	s_delay_alu instid0(VALU_DEP_4) | instskip(NEXT) | instid1(VALU_DEP_4)
	v_add_co_ci_u32_e32 v12, vcc_lo, s5, v6, vcc_lo
	v_add_co_u32 v5, vcc_lo, s11, v7
	v_add_co_ci_u32_e32 v6, vcc_lo, s14, v8, vcc_lo
	v_add_co_u32 v7, vcc_lo, s15, v7
	;; [unrolled: 2-line block ×3, first 2 shown]
	v_add_co_ci_u32_e32 v10, vcc_lo, v12, v10, vcc_lo
	global_load_b32 v11, v[5:6], off
	global_load_b32 v8, v[7:8], off
	global_load_b64 v[5:6], v[9:10], off
	v_cmp_le_i32_e32 vcc_lo, s8, v3
	s_or_b32 s19, vcc_lo, s19
	s_waitcnt vmcnt(0)
	v_mul_f32_e32 v12, v8, v6
	v_mul_f32_e32 v7, v11, v6
	s_delay_alu instid0(VALU_DEP_2) | instskip(NEXT) | instid1(VALU_DEP_2)
	v_fma_f32 v6, v11, v5, -v12
	v_fmac_f32_e32 v7, v8, v5
	global_store_b64 v[9:10], v[6:7], off
	s_and_not1_b32 exec_lo, exec_lo, s19
	s_cbranch_execnz .LBB4_2
.LBB4_3:
	s_or_b32 exec_lo, exec_lo, s18
	s_mul_i32 s4, s17, s9
	s_mov_b32 s5, exec_lo
	v_cmpx_gt_i32_e64 s4, v0
	s_cbranch_execz .LBB4_6
; %bb.4:
	s_mul_i32 s5, s2, s7
	s_mul_hi_u32 s7, s2, s6
	s_mul_i32 s3, s3, s6
	s_add_i32 s5, s7, s5
	s_mul_i32 s2, s2, s6
	s_add_i32 s3, s5, s3
	s_load_b32 s0, s[0:1], 0x5c
	s_lshl_b64 s[2:3], s[2:3], 2
	s_mov_b32 s6, 0
	s_add_u32 s2, s12, s2
	s_addc_u32 s3, s13, s3
	s_abs_i32 s5, s17
	s_lshl_b32 s7, s17, 1
	v_cvt_f32_u32_e32 v2, s5
	s_sub_i32 s1, 0, s5
	s_sub_i32 s7, 0, s7
	;; [unrolled: 1-line block ×3, first 2 shown]
	s_delay_alu instid0(VALU_DEP_1)
	v_rcp_iflag_f32_e32 v2, v2
	s_waitcnt lgkmcnt(0)
	s_and_b32 s0, s0, 0xffff
	s_waitcnt_depctr 0xfff
	v_mul_f32_e32 v2, 0x4f7ffffe, v2
	s_lshl_b32 s8, s0, 1
	s_delay_alu instid0(VALU_DEP_1) | instskip(NEXT) | instid1(VALU_DEP_1)
	v_cvt_u32_f32_e32 v2, v2
	v_mul_lo_u32 v3, s1, v2
	s_ashr_i32 s1, s17, 31
	s_delay_alu instid0(VALU_DEP_1) | instskip(NEXT) | instid1(VALU_DEP_1)
	v_mul_hi_u32 v3, v2, v3
	v_add_nc_u32_e32 v2, v2, v3
.LBB4_5:                                ; =>This Inner Loop Header: Depth=1
	v_sub_nc_u32_e32 v3, 0, v0
	v_ashrrev_i32_e32 v4, 31, v0
	s_delay_alu instid0(VALU_DEP_2) | instskip(NEXT) | instid1(VALU_DEP_2)
	v_max_i32_e32 v3, v0, v3
	v_xor_b32_e32 v4, s1, v4
	s_delay_alu instid0(VALU_DEP_2) | instskip(NEXT) | instid1(VALU_DEP_1)
	v_mul_hi_u32 v5, v3, v2
	v_mul_lo_u32 v6, v5, s5
	v_add_nc_u32_e32 v7, 1, v5
	s_delay_alu instid0(VALU_DEP_2) | instskip(NEXT) | instid1(VALU_DEP_1)
	v_sub_nc_u32_e32 v3, v3, v6
	v_subrev_nc_u32_e32 v6, s5, v3
	v_cmp_le_u32_e32 vcc_lo, s5, v3
	s_delay_alu instid0(VALU_DEP_4) | instskip(NEXT) | instid1(VALU_DEP_1)
	v_cndmask_b32_e32 v5, v5, v7, vcc_lo
	v_dual_cndmask_b32 v3, v3, v6 :: v_dual_add_nc_u32 v6, 1, v5
	s_delay_alu instid0(VALU_DEP_1) | instskip(NEXT) | instid1(VALU_DEP_2)
	v_cmp_le_u32_e32 vcc_lo, s5, v3
	v_cndmask_b32_e32 v3, v5, v6, vcc_lo
	s_delay_alu instid0(VALU_DEP_1) | instskip(NEXT) | instid1(VALU_DEP_1)
	v_xor_b32_e32 v3, v3, v4
	v_sub_nc_u32_e32 v4, v3, v4
	s_delay_alu instid0(VALU_DEP_1)
	v_mul_lo_u32 v3, v4, s10
	v_mad_u64_u32 v[5:6], null, s9, v4, v[0:1]
	v_mad_u64_u32 v[7:8], null, s7, v4, v[1:2]
	v_add_nc_u32_e32 v0, s0, v0
	v_add_nc_u32_e32 v1, s8, v1
	v_ashrrev_i32_e32 v4, 31, v3
	v_ashrrev_i32_e32 v6, 31, v5
	;; [unrolled: 1-line block ×3, first 2 shown]
	s_delay_alu instid0(VALU_DEP_3) | instskip(NEXT) | instid1(VALU_DEP_3)
	v_lshlrev_b64 v[3:4], 2, v[3:4]
	v_lshlrev_b64 v[5:6], 2, v[5:6]
	s_delay_alu instid0(VALU_DEP_3) | instskip(NEXT) | instid1(VALU_DEP_3)
	v_lshlrev_b64 v[7:8], 2, v[7:8]
	v_add_co_u32 v9, vcc_lo, s2, v3
	s_delay_alu instid0(VALU_DEP_4) | instskip(NEXT) | instid1(VALU_DEP_4)
	v_add_co_ci_u32_e32 v10, vcc_lo, s3, v4, vcc_lo
	v_add_co_u32 v3, vcc_lo, s11, v5
	v_add_co_ci_u32_e32 v4, vcc_lo, s14, v6, vcc_lo
	v_add_co_u32 v5, vcc_lo, s15, v5
	;; [unrolled: 2-line block ×3, first 2 shown]
	v_add_co_ci_u32_e32 v8, vcc_lo, v10, v8, vcc_lo
	global_load_b32 v9, v[3:4], off
	global_load_b32 v6, v[5:6], off
	global_load_b64 v[3:4], v[7:8], off
	v_cmp_le_i32_e32 vcc_lo, s4, v0
	s_or_b32 s6, vcc_lo, s6
	s_waitcnt vmcnt(0)
	v_mul_f32_e32 v10, v6, v4
	v_mul_f32_e32 v5, v9, v4
	s_delay_alu instid0(VALU_DEP_2) | instskip(NEXT) | instid1(VALU_DEP_2)
	v_fma_f32 v4, v9, v3, -v10
	v_fmac_f32_e32 v5, v6, v3
	global_store_b64 v[7:8], v[4:5], off
	s_and_not1_b32 exec_lo, exec_lo, s6
	s_cbranch_execnz .LBB4_5
.LBB4_6:
	s_nop 0
	s_sendmsg sendmsg(MSG_DEALLOC_VGPRS)
	s_endpgm
	.section	.rodata,"a",@progbits
	.p2align	6, 0x0
	.amdhsa_kernel _ZN4vllm23rotary_embedding_kernelIfLb0ELb0EEEvPKlPT_S4_PKS3_S6_illiii
		.amdhsa_group_segment_fixed_size 0
		.amdhsa_private_segment_fixed_size 0
		.amdhsa_kernarg_size 336
		.amdhsa_user_sgpr_count 15
		.amdhsa_user_sgpr_dispatch_ptr 0
		.amdhsa_user_sgpr_queue_ptr 0
		.amdhsa_user_sgpr_kernarg_segment_ptr 1
		.amdhsa_user_sgpr_dispatch_id 0
		.amdhsa_user_sgpr_private_segment_size 0
		.amdhsa_wavefront_size32 1
		.amdhsa_uses_dynamic_stack 0
		.amdhsa_enable_private_segment 0
		.amdhsa_system_sgpr_workgroup_id_x 1
		.amdhsa_system_sgpr_workgroup_id_y 0
		.amdhsa_system_sgpr_workgroup_id_z 0
		.amdhsa_system_sgpr_workgroup_info 0
		.amdhsa_system_vgpr_workitem_id 0
		.amdhsa_next_free_vgpr 13
		.amdhsa_next_free_sgpr 26
		.amdhsa_reserve_vcc 1
		.amdhsa_float_round_mode_32 0
		.amdhsa_float_round_mode_16_64 0
		.amdhsa_float_denorm_mode_32 3
		.amdhsa_float_denorm_mode_16_64 3
		.amdhsa_dx10_clamp 1
		.amdhsa_ieee_mode 1
		.amdhsa_fp16_overflow 0
		.amdhsa_workgroup_processor_mode 1
		.amdhsa_memory_ordered 1
		.amdhsa_forward_progress 0
		.amdhsa_shared_vgpr_count 0
		.amdhsa_exception_fp_ieee_invalid_op 0
		.amdhsa_exception_fp_denorm_src 0
		.amdhsa_exception_fp_ieee_div_zero 0
		.amdhsa_exception_fp_ieee_overflow 0
		.amdhsa_exception_fp_ieee_underflow 0
		.amdhsa_exception_fp_ieee_inexact 0
		.amdhsa_exception_int_div_zero 0
	.end_amdhsa_kernel
	.section	.text._ZN4vllm23rotary_embedding_kernelIfLb0ELb0EEEvPKlPT_S4_PKS3_S6_illiii,"axG",@progbits,_ZN4vllm23rotary_embedding_kernelIfLb0ELb0EEEvPKlPT_S4_PKS3_S6_illiii,comdat
.Lfunc_end4:
	.size	_ZN4vllm23rotary_embedding_kernelIfLb0ELb0EEEvPKlPT_S4_PKS3_S6_illiii, .Lfunc_end4-_ZN4vllm23rotary_embedding_kernelIfLb0ELb0EEEvPKlPT_S4_PKS3_S6_illiii
                                        ; -- End function
	.section	.AMDGPU.csdata,"",@progbits
; Kernel info:
; codeLenInByte = 1156
; NumSgprs: 28
; NumVgprs: 13
; ScratchSize: 0
; MemoryBound: 0
; FloatMode: 240
; IeeeMode: 1
; LDSByteSize: 0 bytes/workgroup (compile time only)
; SGPRBlocks: 3
; VGPRBlocks: 1
; NumSGPRsForWavesPerEU: 28
; NumVGPRsForWavesPerEU: 13
; Occupancy: 16
; WaveLimiterHint : 1
; COMPUTE_PGM_RSRC2:SCRATCH_EN: 0
; COMPUTE_PGM_RSRC2:USER_SGPR: 15
; COMPUTE_PGM_RSRC2:TRAP_HANDLER: 0
; COMPUTE_PGM_RSRC2:TGID_X_EN: 1
; COMPUTE_PGM_RSRC2:TGID_Y_EN: 0
; COMPUTE_PGM_RSRC2:TGID_Z_EN: 0
; COMPUTE_PGM_RSRC2:TIDIG_COMP_CNT: 0
	.section	.text._ZN4vllm23rotary_embedding_kernelIN3c104HalfELb1ELb1EEEvPKlPT_S6_PKS5_S8_illiii,"axG",@progbits,_ZN4vllm23rotary_embedding_kernelIN3c104HalfELb1ELb1EEEvPKlPT_S6_PKS5_S8_illiii,comdat
	.protected	_ZN4vllm23rotary_embedding_kernelIN3c104HalfELb1ELb1EEEvPKlPT_S6_PKS5_S8_illiii ; -- Begin function _ZN4vllm23rotary_embedding_kernelIN3c104HalfELb1ELb1EEEvPKlPT_S6_PKS5_S8_illiii
	.globl	_ZN4vllm23rotary_embedding_kernelIN3c104HalfELb1ELb1EEEvPKlPT_S6_PKS5_S8_illiii
	.p2align	8
	.type	_ZN4vllm23rotary_embedding_kernelIN3c104HalfELb1ELb1EEEvPKlPT_S6_PKS5_S8_illiii,@function
_ZN4vllm23rotary_embedding_kernelIN3c104HalfELb1ELb1EEEvPKlPT_S6_PKS5_S8_illiii: ; @_ZN4vllm23rotary_embedding_kernelIN3c104HalfELb1ELb1EEEvPKlPT_S6_PKS5_S8_illiii
; %bb.0:
	s_clause 0x1
	s_load_b32 s22, s[0:1], 0x28
	s_load_b64 s[2:3], s[0:1], 0x0
	s_mov_b32 s16, s15
	s_ashr_i32 s17, s15, 31
	s_load_b128 s[12:15], s[0:1], 0x10
	s_lshl_b64 s[4:5], s[16:17], 3
	s_waitcnt lgkmcnt(0)
	s_ashr_i32 s18, s22, 31
	s_add_u32 s2, s2, s4
	s_addc_u32 s3, s3, s5
	s_load_b64 s[2:3], s[2:3], 0x0
	s_clause 0x1
	s_load_b64 s[20:21], s[0:1], 0x20
	s_load_b256 s[4:11], s[0:1], 0x30
	s_waitcnt lgkmcnt(0)
	s_mul_i32 s11, s2, s18
	s_mul_hi_u32 s18, s2, s22
	s_mul_i32 s3, s3, s22
	s_add_i32 s11, s18, s11
	s_mul_i32 s2, s2, s22
	s_add_i32 s11, s11, s3
	s_delay_alu instid0(SALU_CYCLE_1) | instskip(NEXT) | instid1(SALU_CYCLE_1)
	s_lshr_b32 s3, s11, 31
	s_add_u32 s2, s2, s3
	s_addc_u32 s3, s11, 0
	s_and_b32 s2, s2, -2
	s_delay_alu instid0(SALU_CYCLE_1)
	s_add_u32 s11, s14, s2
	s_addc_u32 s18, s15, s3
	s_add_u32 s19, s20, s2
	s_addc_u32 s20, s21, s3
	s_lshr_b32 s2, s22, 31
	s_sub_i32 s14, s10, s22
	s_add_i32 s2, s22, s2
	s_mov_b32 s21, 0
	s_ashr_i32 s2, s2, 1
	s_ashr_i32 s15, s14, 31
	s_mul_i32 s8, s2, s8
	s_mov_b32 s22, exec_lo
	v_cmpx_gt_i32_e64 s8, v0
	s_cbranch_execz .LBB5_3
; %bb.1:
	s_clause 0x1
	s_load_b64 s[24:25], s[0:1], 0x8
	s_load_b32 s28, s[0:1], 0x5c
	s_lshl_b64 s[26:27], s[14:15], 1
	s_mul_i32 s3, s16, s5
	s_mul_hi_u32 s5, s16, s4
	s_mul_i32 s23, s17, s4
	s_mul_i32 s4, s16, s4
	s_waitcnt lgkmcnt(0)
	s_add_u32 s24, s24, s26
	s_addc_u32 s25, s25, s27
	s_add_i32 s3, s5, s3
	s_delay_alu instid0(SALU_CYCLE_1) | instskip(NEXT) | instid1(SALU_CYCLE_1)
	s_add_i32 s5, s3, s23
	s_lshl_b64 s[4:5], s[4:5], 1
	s_delay_alu instid0(SALU_CYCLE_1)
	s_add_u32 s23, s24, s4
	s_addc_u32 s24, s25, s5
	s_abs_i32 s25, s2
	s_and_b32 s26, s28, 0xffff
	v_cvt_f32_u32_e32 v1, s25
	s_sub_i32 s3, 0, s25
	s_sub_i32 s27, 0, s2
	s_delay_alu instid0(VALU_DEP_1) | instskip(SKIP_2) | instid1(VALU_DEP_1)
	v_rcp_iflag_f32_e32 v1, v1
	s_waitcnt_depctr 0xfff
	v_mul_f32_e32 v1, 0x4f7ffffe, v1
	v_cvt_u32_f32_e32 v1, v1
	s_delay_alu instid0(VALU_DEP_1) | instskip(SKIP_1) | instid1(SALU_CYCLE_1)
	v_mul_lo_u32 v2, s3, v1
	s_ashr_i32 s3, s2, 31
	s_lshl_b64 s[4:5], s[2:3], 1
	s_delay_alu instid0(VALU_DEP_1) | instskip(NEXT) | instid1(VALU_DEP_1)
	v_mul_hi_u32 v2, v1, v2
	v_dual_mov_b32 v1, v0 :: v_dual_add_nc_u32 v2, v1, v2
.LBB5_2:                                ; =>This Inner Loop Header: Depth=1
	s_delay_alu instid0(VALU_DEP_1) | instskip(SKIP_1) | instid1(VALU_DEP_2)
	v_sub_nc_u32_e32 v3, 0, v1
	v_ashrrev_i32_e32 v4, 31, v1
	v_max_i32_e32 v3, v1, v3
	s_delay_alu instid0(VALU_DEP_2) | instskip(NEXT) | instid1(VALU_DEP_2)
	v_xor_b32_e32 v4, s3, v4
	v_mul_hi_u32 v5, v3, v2
	s_delay_alu instid0(VALU_DEP_1) | instskip(SKIP_1) | instid1(VALU_DEP_2)
	v_mul_lo_u32 v6, v5, s25
	v_add_nc_u32_e32 v7, 1, v5
	v_sub_nc_u32_e32 v3, v3, v6
	s_delay_alu instid0(VALU_DEP_1) | instskip(SKIP_1) | instid1(VALU_DEP_4)
	v_subrev_nc_u32_e32 v6, s25, v3
	v_cmp_le_u32_e32 vcc_lo, s25, v3
	v_cndmask_b32_e32 v5, v5, v7, vcc_lo
	s_delay_alu instid0(VALU_DEP_1) | instskip(NEXT) | instid1(VALU_DEP_1)
	v_dual_cndmask_b32 v3, v3, v6 :: v_dual_add_nc_u32 v6, 1, v5
	v_cmp_le_u32_e32 vcc_lo, s25, v3
	s_delay_alu instid0(VALU_DEP_2) | instskip(NEXT) | instid1(VALU_DEP_1)
	v_cndmask_b32_e32 v3, v5, v6, vcc_lo
	v_xor_b32_e32 v3, v3, v4
	s_delay_alu instid0(VALU_DEP_1) | instskip(NEXT) | instid1(VALU_DEP_1)
	v_sub_nc_u32_e32 v4, v3, v4
	v_mul_lo_u32 v3, v4, s10
	v_mad_u64_u32 v[5:6], null, s27, v4, v[1:2]
	v_add_nc_u32_e32 v1, s26, v1
	s_delay_alu instid0(VALU_DEP_3) | instskip(NEXT) | instid1(VALU_DEP_3)
	v_ashrrev_i32_e32 v4, 31, v3
	v_ashrrev_i32_e32 v6, 31, v5
	s_delay_alu instid0(VALU_DEP_2) | instskip(NEXT) | instid1(VALU_DEP_2)
	v_lshlrev_b64 v[3:4], 1, v[3:4]
	v_lshlrev_b64 v[5:6], 1, v[5:6]
	s_delay_alu instid0(VALU_DEP_2) | instskip(NEXT) | instid1(VALU_DEP_3)
	v_add_co_u32 v9, vcc_lo, s23, v3
	v_add_co_ci_u32_e32 v10, vcc_lo, s24, v4, vcc_lo
	s_delay_alu instid0(VALU_DEP_3) | instskip(NEXT) | instid1(VALU_DEP_4)
	v_add_co_u32 v3, vcc_lo, s11, v5
	v_add_co_ci_u32_e32 v4, vcc_lo, s18, v6, vcc_lo
	v_add_co_u32 v7, vcc_lo, s19, v5
	v_add_co_ci_u32_e32 v8, vcc_lo, s20, v6, vcc_lo
	;; [unrolled: 2-line block ×3, first 2 shown]
	s_delay_alu instid0(VALU_DEP_2) | instskip(NEXT) | instid1(VALU_DEP_2)
	v_add_co_u32 v9, vcc_lo, v5, s4
	v_add_co_ci_u32_e32 v10, vcc_lo, s5, v6, vcc_lo
	global_load_u16 v3, v[3:4], off
	global_load_u16 v4, v[7:8], off
	s_clause 0x1
	global_load_u16 v7, v[5:6], off
	global_load_u16 v8, v[9:10], off
	v_cmp_le_i32_e32 vcc_lo, s8, v1
	s_or_b32 s21, vcc_lo, s21
	s_waitcnt vmcnt(0)
	v_mul_f16_e32 v11, v4, v8
	v_mul_f16_e32 v8, v3, v8
	s_delay_alu instid0(VALU_DEP_2) | instskip(NEXT) | instid1(VALU_DEP_2)
	v_fma_f16 v3, v3, v7, -v11
	v_fmac_f16_e32 v8, v4, v7
	s_clause 0x1
	global_store_b16 v[5:6], v3, off
	global_store_b16 v[9:10], v8, off
	s_and_not1_b32 exec_lo, exec_lo, s21
	s_cbranch_execnz .LBB5_2
.LBB5_3:
	s_or_b32 exec_lo, exec_lo, s22
	s_mul_i32 s4, s2, s9
	s_mov_b32 s3, exec_lo
	v_cmpx_gt_i32_e64 s4, v0
	s_cbranch_execz .LBB5_6
; %bb.4:
	s_lshl_b64 s[8:9], s[14:15], 1
	s_mul_i32 s3, s16, s7
	s_mul_hi_u32 s7, s16, s6
	s_add_u32 s5, s12, s8
	s_addc_u32 s8, s13, s9
	s_add_i32 s3, s7, s3
	s_mul_i32 s7, s17, s6
	s_mul_i32 s6, s16, s6
	s_add_i32 s7, s3, s7
	s_load_b32 s0, s[0:1], 0x5c
	s_lshl_b64 s[6:7], s[6:7], 1
	s_mov_b32 s9, 0
	s_add_u32 s5, s5, s6
	s_addc_u32 s6, s8, s7
	s_abs_i32 s7, s2
	s_ashr_i32 s3, s2, 31
	v_cvt_f32_u32_e32 v1, s7
	s_sub_i32 s1, 0, s7
	s_sub_i32 s12, 0, s2
	s_delay_alu instid0(VALU_DEP_1) | instskip(SKIP_4) | instid1(VALU_DEP_1)
	v_rcp_iflag_f32_e32 v1, v1
	s_waitcnt lgkmcnt(0)
	s_and_b32 s8, s0, 0xffff
	s_waitcnt_depctr 0xfff
	v_mul_f32_e32 v1, 0x4f7ffffe, v1
	v_cvt_u32_f32_e32 v1, v1
	s_delay_alu instid0(VALU_DEP_1) | instskip(SKIP_1) | instid1(VALU_DEP_1)
	v_mul_lo_u32 v2, s1, v1
	s_lshl_b64 s[0:1], s[2:3], 1
	v_mul_hi_u32 v2, v1, v2
	s_delay_alu instid0(VALU_DEP_1)
	v_add_nc_u32_e32 v1, v1, v2
.LBB5_5:                                ; =>This Inner Loop Header: Depth=1
	v_sub_nc_u32_e32 v2, 0, v0
	v_ashrrev_i32_e32 v3, 31, v0
	s_delay_alu instid0(VALU_DEP_2) | instskip(NEXT) | instid1(VALU_DEP_2)
	v_max_i32_e32 v2, v0, v2
	v_xor_b32_e32 v3, s3, v3
	s_delay_alu instid0(VALU_DEP_2) | instskip(NEXT) | instid1(VALU_DEP_1)
	v_mul_hi_u32 v4, v2, v1
	v_mul_lo_u32 v5, v4, s7
	v_add_nc_u32_e32 v6, 1, v4
	s_delay_alu instid0(VALU_DEP_2) | instskip(NEXT) | instid1(VALU_DEP_1)
	v_sub_nc_u32_e32 v2, v2, v5
	v_subrev_nc_u32_e32 v5, s7, v2
	v_cmp_le_u32_e32 vcc_lo, s7, v2
	s_delay_alu instid0(VALU_DEP_4) | instskip(NEXT) | instid1(VALU_DEP_1)
	v_cndmask_b32_e32 v4, v4, v6, vcc_lo
	v_dual_cndmask_b32 v2, v2, v5 :: v_dual_add_nc_u32 v5, 1, v4
	s_delay_alu instid0(VALU_DEP_1) | instskip(NEXT) | instid1(VALU_DEP_2)
	v_cmp_le_u32_e32 vcc_lo, s7, v2
	v_cndmask_b32_e32 v2, v4, v5, vcc_lo
	s_delay_alu instid0(VALU_DEP_1) | instskip(NEXT) | instid1(VALU_DEP_1)
	v_xor_b32_e32 v2, v2, v3
	v_sub_nc_u32_e32 v3, v2, v3
	s_delay_alu instid0(VALU_DEP_1) | instskip(SKIP_2) | instid1(VALU_DEP_3)
	v_mul_lo_u32 v2, v3, s10
	v_mad_u64_u32 v[4:5], null, s12, v3, v[0:1]
	v_add_nc_u32_e32 v0, s8, v0
	v_ashrrev_i32_e32 v3, 31, v2
	s_delay_alu instid0(VALU_DEP_3) | instskip(NEXT) | instid1(VALU_DEP_2)
	v_ashrrev_i32_e32 v5, 31, v4
	v_lshlrev_b64 v[2:3], 1, v[2:3]
	s_delay_alu instid0(VALU_DEP_2) | instskip(NEXT) | instid1(VALU_DEP_2)
	v_lshlrev_b64 v[4:5], 1, v[4:5]
	v_add_co_u32 v8, vcc_lo, s5, v2
	s_delay_alu instid0(VALU_DEP_3) | instskip(NEXT) | instid1(VALU_DEP_3)
	v_add_co_ci_u32_e32 v9, vcc_lo, s6, v3, vcc_lo
	v_add_co_u32 v2, vcc_lo, s11, v4
	s_delay_alu instid0(VALU_DEP_4) | instskip(SKIP_4) | instid1(VALU_DEP_2)
	v_add_co_ci_u32_e32 v3, vcc_lo, s18, v5, vcc_lo
	v_add_co_u32 v6, vcc_lo, s19, v4
	v_add_co_ci_u32_e32 v7, vcc_lo, s20, v5, vcc_lo
	v_add_co_u32 v4, vcc_lo, v8, v4
	;; [unrolled: 2-line block ×3, first 2 shown]
	s_delay_alu instid0(VALU_DEP_2)
	v_add_co_ci_u32_e32 v9, vcc_lo, s1, v5, vcc_lo
	global_load_u16 v2, v[2:3], off
	global_load_u16 v3, v[6:7], off
	s_clause 0x1
	global_load_u16 v6, v[4:5], off
	global_load_u16 v7, v[8:9], off
	v_cmp_le_i32_e32 vcc_lo, s4, v0
	s_or_b32 s9, vcc_lo, s9
	s_waitcnt vmcnt(0)
	v_mul_f16_e32 v10, v3, v7
	v_mul_f16_e32 v7, v2, v7
	s_delay_alu instid0(VALU_DEP_2) | instskip(NEXT) | instid1(VALU_DEP_2)
	v_fma_f16 v2, v2, v6, -v10
	v_fmac_f16_e32 v7, v3, v6
	s_clause 0x1
	global_store_b16 v[4:5], v2, off
	global_store_b16 v[8:9], v7, off
	s_and_not1_b32 exec_lo, exec_lo, s9
	s_cbranch_execnz .LBB5_5
.LBB5_6:
	s_nop 0
	s_sendmsg sendmsg(MSG_DEALLOC_VGPRS)
	s_endpgm
	.section	.rodata,"a",@progbits
	.p2align	6, 0x0
	.amdhsa_kernel _ZN4vllm23rotary_embedding_kernelIN3c104HalfELb1ELb1EEEvPKlPT_S6_PKS5_S8_illiii
		.amdhsa_group_segment_fixed_size 0
		.amdhsa_private_segment_fixed_size 0
		.amdhsa_kernarg_size 336
		.amdhsa_user_sgpr_count 15
		.amdhsa_user_sgpr_dispatch_ptr 0
		.amdhsa_user_sgpr_queue_ptr 0
		.amdhsa_user_sgpr_kernarg_segment_ptr 1
		.amdhsa_user_sgpr_dispatch_id 0
		.amdhsa_user_sgpr_private_segment_size 0
		.amdhsa_wavefront_size32 1
		.amdhsa_uses_dynamic_stack 0
		.amdhsa_enable_private_segment 0
		.amdhsa_system_sgpr_workgroup_id_x 1
		.amdhsa_system_sgpr_workgroup_id_y 0
		.amdhsa_system_sgpr_workgroup_id_z 0
		.amdhsa_system_sgpr_workgroup_info 0
		.amdhsa_system_vgpr_workitem_id 0
		.amdhsa_next_free_vgpr 12
		.amdhsa_next_free_sgpr 29
		.amdhsa_reserve_vcc 1
		.amdhsa_float_round_mode_32 0
		.amdhsa_float_round_mode_16_64 0
		.amdhsa_float_denorm_mode_32 3
		.amdhsa_float_denorm_mode_16_64 3
		.amdhsa_dx10_clamp 1
		.amdhsa_ieee_mode 1
		.amdhsa_fp16_overflow 0
		.amdhsa_workgroup_processor_mode 1
		.amdhsa_memory_ordered 1
		.amdhsa_forward_progress 0
		.amdhsa_shared_vgpr_count 0
		.amdhsa_exception_fp_ieee_invalid_op 0
		.amdhsa_exception_fp_denorm_src 0
		.amdhsa_exception_fp_ieee_div_zero 0
		.amdhsa_exception_fp_ieee_overflow 0
		.amdhsa_exception_fp_ieee_underflow 0
		.amdhsa_exception_fp_ieee_inexact 0
		.amdhsa_exception_int_div_zero 0
	.end_amdhsa_kernel
	.section	.text._ZN4vllm23rotary_embedding_kernelIN3c104HalfELb1ELb1EEEvPKlPT_S6_PKS5_S8_illiii,"axG",@progbits,_ZN4vllm23rotary_embedding_kernelIN3c104HalfELb1ELb1EEEvPKlPT_S6_PKS5_S8_illiii,comdat
.Lfunc_end5:
	.size	_ZN4vllm23rotary_embedding_kernelIN3c104HalfELb1ELb1EEEvPKlPT_S6_PKS5_S8_illiii, .Lfunc_end5-_ZN4vllm23rotary_embedding_kernelIN3c104HalfELb1ELb1EEEvPKlPT_S6_PKS5_S8_illiii
                                        ; -- End function
	.section	.AMDGPU.csdata,"",@progbits
; Kernel info:
; codeLenInByte = 1204
; NumSgprs: 31
; NumVgprs: 12
; ScratchSize: 0
; MemoryBound: 0
; FloatMode: 240
; IeeeMode: 1
; LDSByteSize: 0 bytes/workgroup (compile time only)
; SGPRBlocks: 3
; VGPRBlocks: 1
; NumSGPRsForWavesPerEU: 31
; NumVGPRsForWavesPerEU: 12
; Occupancy: 16
; WaveLimiterHint : 1
; COMPUTE_PGM_RSRC2:SCRATCH_EN: 0
; COMPUTE_PGM_RSRC2:USER_SGPR: 15
; COMPUTE_PGM_RSRC2:TRAP_HANDLER: 0
; COMPUTE_PGM_RSRC2:TGID_X_EN: 1
; COMPUTE_PGM_RSRC2:TGID_Y_EN: 0
; COMPUTE_PGM_RSRC2:TGID_Z_EN: 0
; COMPUTE_PGM_RSRC2:TIDIG_COMP_CNT: 0
	.section	.text._ZN4vllm23rotary_embedding_kernelIN3c104HalfELb1ELb0EEEvPKlPT_S6_PKS5_S8_illiii,"axG",@progbits,_ZN4vllm23rotary_embedding_kernelIN3c104HalfELb1ELb0EEEvPKlPT_S6_PKS5_S8_illiii,comdat
	.protected	_ZN4vllm23rotary_embedding_kernelIN3c104HalfELb1ELb0EEEvPKlPT_S6_PKS5_S8_illiii ; -- Begin function _ZN4vllm23rotary_embedding_kernelIN3c104HalfELb1ELb0EEEvPKlPT_S6_PKS5_S8_illiii
	.globl	_ZN4vllm23rotary_embedding_kernelIN3c104HalfELb1ELb0EEEvPKlPT_S6_PKS5_S8_illiii
	.p2align	8
	.type	_ZN4vllm23rotary_embedding_kernelIN3c104HalfELb1ELb0EEEvPKlPT_S6_PKS5_S8_illiii,@function
_ZN4vllm23rotary_embedding_kernelIN3c104HalfELb1ELb0EEEvPKlPT_S6_PKS5_S8_illiii: ; @_ZN4vllm23rotary_embedding_kernelIN3c104HalfELb1ELb0EEEvPKlPT_S6_PKS5_S8_illiii
; %bb.0:
	s_clause 0x1
	s_load_b32 s20, s[0:1], 0x28
	s_load_b64 s[2:3], s[0:1], 0x0
	s_mov_b32 s16, s15
	s_ashr_i32 s17, s15, 31
	s_load_b128 s[12:15], s[0:1], 0x10
	s_lshl_b64 s[4:5], s[16:17], 3
	s_waitcnt lgkmcnt(0)
	s_ashr_i32 s21, s20, 31
	s_add_u32 s2, s2, s4
	s_addc_u32 s3, s3, s5
	s_load_b64 s[2:3], s[2:3], 0x0
	s_clause 0x1
	s_load_b64 s[18:19], s[0:1], 0x20
	s_load_b256 s[4:11], s[0:1], 0x30
	s_waitcnt lgkmcnt(0)
	s_mul_i32 s11, s2, s21
	s_mul_hi_u32 s21, s2, s20
	s_mul_i32 s3, s3, s20
	s_add_i32 s11, s21, s11
	s_mul_i32 s2, s2, s20
	s_add_i32 s11, s11, s3
	s_delay_alu instid0(SALU_CYCLE_1) | instskip(NEXT) | instid1(SALU_CYCLE_1)
	s_lshr_b32 s3, s11, 31
	s_add_u32 s2, s2, s3
	s_addc_u32 s3, s11, 0
	s_and_b32 s2, s2, -2
	s_delay_alu instid0(SALU_CYCLE_1)
	s_add_u32 s11, s14, s2
	s_addc_u32 s14, s15, s3
	s_add_u32 s15, s18, s2
	s_addc_u32 s18, s19, s3
	s_lshr_b32 s2, s20, 31
	s_mov_b32 s19, exec_lo
	s_add_i32 s20, s20, s2
	s_delay_alu instid0(SALU_CYCLE_1) | instskip(SKIP_2) | instid1(SALU_CYCLE_1)
	s_ashr_i32 s2, s20, 1
	s_mov_b32 s20, 0
	s_mul_i32 s8, s2, s8
	v_cmpx_gt_i32_e64 s8, v0
	s_cbranch_execz .LBB6_3
; %bb.1:
	s_load_b64 s[22:23], s[0:1], 0x8
	s_mul_i32 s3, s16, s5
	s_mul_hi_u32 s5, s16, s4
	s_mul_i32 s21, s17, s4
	s_add_i32 s3, s5, s3
	s_mul_i32 s4, s16, s4
	s_add_i32 s5, s3, s21
	s_load_b32 s3, s[0:1], 0x5c
	s_lshl_b64 s[4:5], s[4:5], 1
	s_waitcnt lgkmcnt(0)
	s_add_u32 s21, s22, s4
	s_addc_u32 s22, s23, s5
	s_abs_i32 s23, s2
	s_sub_i32 s25, 0, s2
	v_cvt_f32_u32_e32 v1, s23
	s_sub_i32 s4, 0, s23
	s_and_b32 s24, s3, 0xffff
	s_ashr_i32 s3, s2, 31
	s_delay_alu instid0(VALU_DEP_1) | instskip(SKIP_2) | instid1(VALU_DEP_1)
	v_rcp_iflag_f32_e32 v1, v1
	s_waitcnt_depctr 0xfff
	v_mul_f32_e32 v1, 0x4f7ffffe, v1
	v_cvt_u32_f32_e32 v1, v1
	s_delay_alu instid0(VALU_DEP_1) | instskip(SKIP_1) | instid1(VALU_DEP_1)
	v_mul_lo_u32 v2, s4, v1
	s_lshl_b64 s[4:5], s[2:3], 1
	v_mul_hi_u32 v2, v1, v2
	s_delay_alu instid0(VALU_DEP_1)
	v_dual_mov_b32 v1, v0 :: v_dual_add_nc_u32 v2, v1, v2
.LBB6_2:                                ; =>This Inner Loop Header: Depth=1
	s_delay_alu instid0(VALU_DEP_1) | instskip(SKIP_1) | instid1(VALU_DEP_2)
	v_sub_nc_u32_e32 v3, 0, v1
	v_ashrrev_i32_e32 v4, 31, v1
	v_max_i32_e32 v3, v1, v3
	s_delay_alu instid0(VALU_DEP_2) | instskip(NEXT) | instid1(VALU_DEP_2)
	v_xor_b32_e32 v4, s3, v4
	v_mul_hi_u32 v5, v3, v2
	s_delay_alu instid0(VALU_DEP_1) | instskip(SKIP_1) | instid1(VALU_DEP_2)
	v_mul_lo_u32 v6, v5, s23
	v_add_nc_u32_e32 v7, 1, v5
	v_sub_nc_u32_e32 v3, v3, v6
	s_delay_alu instid0(VALU_DEP_1) | instskip(SKIP_1) | instid1(VALU_DEP_4)
	v_subrev_nc_u32_e32 v6, s23, v3
	v_cmp_le_u32_e32 vcc_lo, s23, v3
	v_cndmask_b32_e32 v5, v5, v7, vcc_lo
	s_delay_alu instid0(VALU_DEP_1) | instskip(NEXT) | instid1(VALU_DEP_1)
	v_dual_cndmask_b32 v3, v3, v6 :: v_dual_add_nc_u32 v6, 1, v5
	v_cmp_le_u32_e32 vcc_lo, s23, v3
	s_delay_alu instid0(VALU_DEP_2) | instskip(NEXT) | instid1(VALU_DEP_1)
	v_cndmask_b32_e32 v3, v5, v6, vcc_lo
	v_xor_b32_e32 v3, v3, v4
	s_delay_alu instid0(VALU_DEP_1) | instskip(NEXT) | instid1(VALU_DEP_1)
	v_sub_nc_u32_e32 v4, v3, v4
	v_mul_lo_u32 v3, v4, s10
	v_mad_u64_u32 v[5:6], null, s25, v4, v[1:2]
	v_add_nc_u32_e32 v1, s24, v1
	s_delay_alu instid0(VALU_DEP_3) | instskip(NEXT) | instid1(VALU_DEP_3)
	v_ashrrev_i32_e32 v4, 31, v3
	v_ashrrev_i32_e32 v6, 31, v5
	s_delay_alu instid0(VALU_DEP_2) | instskip(NEXT) | instid1(VALU_DEP_2)
	v_lshlrev_b64 v[3:4], 1, v[3:4]
	v_lshlrev_b64 v[5:6], 1, v[5:6]
	s_delay_alu instid0(VALU_DEP_2) | instskip(NEXT) | instid1(VALU_DEP_3)
	v_add_co_u32 v9, vcc_lo, s21, v3
	v_add_co_ci_u32_e32 v10, vcc_lo, s22, v4, vcc_lo
	s_delay_alu instid0(VALU_DEP_3) | instskip(NEXT) | instid1(VALU_DEP_4)
	v_add_co_u32 v3, vcc_lo, s11, v5
	v_add_co_ci_u32_e32 v4, vcc_lo, s14, v6, vcc_lo
	v_add_co_u32 v7, vcc_lo, s15, v5
	v_add_co_ci_u32_e32 v8, vcc_lo, s18, v6, vcc_lo
	;; [unrolled: 2-line block ×3, first 2 shown]
	s_delay_alu instid0(VALU_DEP_2) | instskip(NEXT) | instid1(VALU_DEP_2)
	v_add_co_u32 v9, vcc_lo, v5, s4
	v_add_co_ci_u32_e32 v10, vcc_lo, s5, v6, vcc_lo
	global_load_u16 v3, v[3:4], off
	global_load_u16 v4, v[7:8], off
	s_clause 0x1
	global_load_u16 v7, v[5:6], off
	global_load_u16 v8, v[9:10], off
	v_cmp_le_i32_e32 vcc_lo, s8, v1
	s_or_b32 s20, vcc_lo, s20
	s_waitcnt vmcnt(0)
	v_mul_f16_e32 v11, v4, v8
	v_mul_f16_e32 v8, v3, v8
	s_delay_alu instid0(VALU_DEP_2) | instskip(NEXT) | instid1(VALU_DEP_2)
	v_fma_f16 v3, v3, v7, -v11
	v_fmac_f16_e32 v8, v4, v7
	s_clause 0x1
	global_store_b16 v[5:6], v3, off
	global_store_b16 v[9:10], v8, off
	s_and_not1_b32 exec_lo, exec_lo, s20
	s_cbranch_execnz .LBB6_2
.LBB6_3:
	s_or_b32 exec_lo, exec_lo, s19
	s_mul_i32 s4, s2, s9
	s_mov_b32 s3, exec_lo
	v_cmpx_gt_i32_e64 s4, v0
	s_cbranch_execz .LBB6_6
; %bb.4:
	s_mul_i32 s3, s16, s7
	s_mul_hi_u32 s5, s16, s6
	s_load_b32 s0, s[0:1], 0x5c
	s_add_i32 s3, s5, s3
	s_mul_i32 s5, s17, s6
	s_mul_i32 s6, s16, s6
	s_add_i32 s7, s3, s5
	s_mov_b32 s9, 0
	s_lshl_b64 s[6:7], s[6:7], 1
	s_delay_alu instid0(SALU_CYCLE_1)
	s_add_u32 s5, s12, s6
	s_addc_u32 s6, s13, s7
	s_abs_i32 s7, s2
	s_ashr_i32 s3, s2, 31
	v_cvt_f32_u32_e32 v1, s7
	s_sub_i32 s1, 0, s7
	s_sub_i32 s12, 0, s2
	s_delay_alu instid0(VALU_DEP_1) | instskip(SKIP_4) | instid1(VALU_DEP_1)
	v_rcp_iflag_f32_e32 v1, v1
	s_waitcnt lgkmcnt(0)
	s_and_b32 s8, s0, 0xffff
	s_waitcnt_depctr 0xfff
	v_mul_f32_e32 v1, 0x4f7ffffe, v1
	v_cvt_u32_f32_e32 v1, v1
	s_delay_alu instid0(VALU_DEP_1) | instskip(SKIP_1) | instid1(VALU_DEP_1)
	v_mul_lo_u32 v2, s1, v1
	s_lshl_b64 s[0:1], s[2:3], 1
	v_mul_hi_u32 v2, v1, v2
	s_delay_alu instid0(VALU_DEP_1)
	v_add_nc_u32_e32 v1, v1, v2
.LBB6_5:                                ; =>This Inner Loop Header: Depth=1
	v_sub_nc_u32_e32 v2, 0, v0
	v_ashrrev_i32_e32 v3, 31, v0
	s_delay_alu instid0(VALU_DEP_2) | instskip(NEXT) | instid1(VALU_DEP_2)
	v_max_i32_e32 v2, v0, v2
	v_xor_b32_e32 v3, s3, v3
	s_delay_alu instid0(VALU_DEP_2) | instskip(NEXT) | instid1(VALU_DEP_1)
	v_mul_hi_u32 v4, v2, v1
	v_mul_lo_u32 v5, v4, s7
	v_add_nc_u32_e32 v6, 1, v4
	s_delay_alu instid0(VALU_DEP_2) | instskip(NEXT) | instid1(VALU_DEP_1)
	v_sub_nc_u32_e32 v2, v2, v5
	v_subrev_nc_u32_e32 v5, s7, v2
	v_cmp_le_u32_e32 vcc_lo, s7, v2
	s_delay_alu instid0(VALU_DEP_4) | instskip(NEXT) | instid1(VALU_DEP_1)
	v_cndmask_b32_e32 v4, v4, v6, vcc_lo
	v_dual_cndmask_b32 v2, v2, v5 :: v_dual_add_nc_u32 v5, 1, v4
	s_delay_alu instid0(VALU_DEP_1) | instskip(NEXT) | instid1(VALU_DEP_2)
	v_cmp_le_u32_e32 vcc_lo, s7, v2
	v_cndmask_b32_e32 v2, v4, v5, vcc_lo
	s_delay_alu instid0(VALU_DEP_1) | instskip(NEXT) | instid1(VALU_DEP_1)
	v_xor_b32_e32 v2, v2, v3
	v_sub_nc_u32_e32 v3, v2, v3
	s_delay_alu instid0(VALU_DEP_1) | instskip(SKIP_2) | instid1(VALU_DEP_3)
	v_mul_lo_u32 v2, v3, s10
	v_mad_u64_u32 v[4:5], null, s12, v3, v[0:1]
	v_add_nc_u32_e32 v0, s8, v0
	v_ashrrev_i32_e32 v3, 31, v2
	s_delay_alu instid0(VALU_DEP_3) | instskip(NEXT) | instid1(VALU_DEP_2)
	v_ashrrev_i32_e32 v5, 31, v4
	v_lshlrev_b64 v[2:3], 1, v[2:3]
	s_delay_alu instid0(VALU_DEP_2) | instskip(NEXT) | instid1(VALU_DEP_2)
	v_lshlrev_b64 v[4:5], 1, v[4:5]
	v_add_co_u32 v8, vcc_lo, s5, v2
	s_delay_alu instid0(VALU_DEP_3) | instskip(NEXT) | instid1(VALU_DEP_3)
	v_add_co_ci_u32_e32 v9, vcc_lo, s6, v3, vcc_lo
	v_add_co_u32 v2, vcc_lo, s11, v4
	s_delay_alu instid0(VALU_DEP_4) | instskip(SKIP_4) | instid1(VALU_DEP_2)
	v_add_co_ci_u32_e32 v3, vcc_lo, s14, v5, vcc_lo
	v_add_co_u32 v6, vcc_lo, s15, v4
	v_add_co_ci_u32_e32 v7, vcc_lo, s18, v5, vcc_lo
	v_add_co_u32 v4, vcc_lo, v8, v4
	;; [unrolled: 2-line block ×3, first 2 shown]
	s_delay_alu instid0(VALU_DEP_2)
	v_add_co_ci_u32_e32 v9, vcc_lo, s1, v5, vcc_lo
	global_load_u16 v2, v[2:3], off
	global_load_u16 v3, v[6:7], off
	s_clause 0x1
	global_load_u16 v6, v[4:5], off
	global_load_u16 v7, v[8:9], off
	v_cmp_le_i32_e32 vcc_lo, s4, v0
	s_or_b32 s9, vcc_lo, s9
	s_waitcnt vmcnt(0)
	v_mul_f16_e32 v10, v3, v7
	v_mul_f16_e32 v7, v2, v7
	s_delay_alu instid0(VALU_DEP_2) | instskip(NEXT) | instid1(VALU_DEP_2)
	v_fma_f16 v2, v2, v6, -v10
	v_fmac_f16_e32 v7, v3, v6
	s_clause 0x1
	global_store_b16 v[4:5], v2, off
	global_store_b16 v[8:9], v7, off
	s_and_not1_b32 exec_lo, exec_lo, s9
	s_cbranch_execnz .LBB6_5
.LBB6_6:
	s_nop 0
	s_sendmsg sendmsg(MSG_DEALLOC_VGPRS)
	s_endpgm
	.section	.rodata,"a",@progbits
	.p2align	6, 0x0
	.amdhsa_kernel _ZN4vllm23rotary_embedding_kernelIN3c104HalfELb1ELb0EEEvPKlPT_S6_PKS5_S8_illiii
		.amdhsa_group_segment_fixed_size 0
		.amdhsa_private_segment_fixed_size 0
		.amdhsa_kernarg_size 336
		.amdhsa_user_sgpr_count 15
		.amdhsa_user_sgpr_dispatch_ptr 0
		.amdhsa_user_sgpr_queue_ptr 0
		.amdhsa_user_sgpr_kernarg_segment_ptr 1
		.amdhsa_user_sgpr_dispatch_id 0
		.amdhsa_user_sgpr_private_segment_size 0
		.amdhsa_wavefront_size32 1
		.amdhsa_uses_dynamic_stack 0
		.amdhsa_enable_private_segment 0
		.amdhsa_system_sgpr_workgroup_id_x 1
		.amdhsa_system_sgpr_workgroup_id_y 0
		.amdhsa_system_sgpr_workgroup_id_z 0
		.amdhsa_system_sgpr_workgroup_info 0
		.amdhsa_system_vgpr_workitem_id 0
		.amdhsa_next_free_vgpr 12
		.amdhsa_next_free_sgpr 26
		.amdhsa_reserve_vcc 1
		.amdhsa_float_round_mode_32 0
		.amdhsa_float_round_mode_16_64 0
		.amdhsa_float_denorm_mode_32 3
		.amdhsa_float_denorm_mode_16_64 3
		.amdhsa_dx10_clamp 1
		.amdhsa_ieee_mode 1
		.amdhsa_fp16_overflow 0
		.amdhsa_workgroup_processor_mode 1
		.amdhsa_memory_ordered 1
		.amdhsa_forward_progress 0
		.amdhsa_shared_vgpr_count 0
		.amdhsa_exception_fp_ieee_invalid_op 0
		.amdhsa_exception_fp_denorm_src 0
		.amdhsa_exception_fp_ieee_div_zero 0
		.amdhsa_exception_fp_ieee_overflow 0
		.amdhsa_exception_fp_ieee_underflow 0
		.amdhsa_exception_fp_ieee_inexact 0
		.amdhsa_exception_int_div_zero 0
	.end_amdhsa_kernel
	.section	.text._ZN4vllm23rotary_embedding_kernelIN3c104HalfELb1ELb0EEEvPKlPT_S6_PKS5_S8_illiii,"axG",@progbits,_ZN4vllm23rotary_embedding_kernelIN3c104HalfELb1ELb0EEEvPKlPT_S6_PKS5_S8_illiii,comdat
.Lfunc_end6:
	.size	_ZN4vllm23rotary_embedding_kernelIN3c104HalfELb1ELb0EEEvPKlPT_S6_PKS5_S8_illiii, .Lfunc_end6-_ZN4vllm23rotary_embedding_kernelIN3c104HalfELb1ELb0EEEvPKlPT_S6_PKS5_S8_illiii
                                        ; -- End function
	.section	.AMDGPU.csdata,"",@progbits
; Kernel info:
; codeLenInByte = 1168
; NumSgprs: 28
; NumVgprs: 12
; ScratchSize: 0
; MemoryBound: 0
; FloatMode: 240
; IeeeMode: 1
; LDSByteSize: 0 bytes/workgroup (compile time only)
; SGPRBlocks: 3
; VGPRBlocks: 1
; NumSGPRsForWavesPerEU: 28
; NumVGPRsForWavesPerEU: 12
; Occupancy: 16
; WaveLimiterHint : 1
; COMPUTE_PGM_RSRC2:SCRATCH_EN: 0
; COMPUTE_PGM_RSRC2:USER_SGPR: 15
; COMPUTE_PGM_RSRC2:TRAP_HANDLER: 0
; COMPUTE_PGM_RSRC2:TGID_X_EN: 1
; COMPUTE_PGM_RSRC2:TGID_Y_EN: 0
; COMPUTE_PGM_RSRC2:TGID_Z_EN: 0
; COMPUTE_PGM_RSRC2:TIDIG_COMP_CNT: 0
	.section	.text._ZN4vllm23rotary_embedding_kernelIN3c104HalfELb0ELb1EEEvPKlPT_S6_PKS5_S8_illiii,"axG",@progbits,_ZN4vllm23rotary_embedding_kernelIN3c104HalfELb0ELb1EEEvPKlPT_S6_PKS5_S8_illiii,comdat
	.protected	_ZN4vllm23rotary_embedding_kernelIN3c104HalfELb0ELb1EEEvPKlPT_S6_PKS5_S8_illiii ; -- Begin function _ZN4vllm23rotary_embedding_kernelIN3c104HalfELb0ELb1EEEvPKlPT_S6_PKS5_S8_illiii
	.globl	_ZN4vllm23rotary_embedding_kernelIN3c104HalfELb0ELb1EEEvPKlPT_S6_PKS5_S8_illiii
	.p2align	8
	.type	_ZN4vllm23rotary_embedding_kernelIN3c104HalfELb0ELb1EEEvPKlPT_S6_PKS5_S8_illiii,@function
_ZN4vllm23rotary_embedding_kernelIN3c104HalfELb0ELb1EEEvPKlPT_S6_PKS5_S8_illiii: ; @_ZN4vllm23rotary_embedding_kernelIN3c104HalfELb0ELb1EEEvPKlPT_S6_PKS5_S8_illiii
; %bb.0:
	s_clause 0x1
	s_load_b32 s20, s[0:1], 0x28
	s_load_b64 s[4:5], s[0:1], 0x0
	s_mov_b32 s2, s15
	s_ashr_i32 s3, s15, 31
	s_load_b128 s[12:15], s[0:1], 0x10
	s_lshl_b64 s[6:7], s[2:3], 3
	v_lshlrev_b32_e32 v1, 1, v0
	s_waitcnt lgkmcnt(0)
	s_ashr_i32 s21, s20, 31
	s_add_u32 s4, s4, s6
	s_addc_u32 s5, s5, s7
	s_load_b64 s[16:17], s[4:5], 0x0
	s_clause 0x1
	s_load_b64 s[18:19], s[0:1], 0x20
	s_load_b256 s[4:11], s[0:1], 0x30
	s_waitcnt lgkmcnt(0)
	s_mul_i32 s11, s16, s21
	s_mul_hi_u32 s21, s16, s20
	s_mul_i32 s17, s17, s20
	s_add_i32 s11, s21, s11
	s_mul_i32 s16, s16, s20
	s_add_i32 s11, s11, s17
	s_delay_alu instid0(SALU_CYCLE_1) | instskip(NEXT) | instid1(SALU_CYCLE_1)
	s_lshr_b32 s17, s11, 31
	s_add_u32 s16, s16, s17
	s_addc_u32 s21, s11, 0
	s_and_b32 s17, s16, -2
	s_delay_alu instid0(SALU_CYCLE_1)
	s_add_u32 s11, s14, s17
	s_addc_u32 s16, s15, s21
	s_add_u32 s17, s18, s17
	s_addc_u32 s18, s19, s21
	s_lshr_b32 s14, s20, 31
	s_mov_b32 s21, exec_lo
	s_add_i32 s14, s20, s14
	s_delay_alu instid0(SALU_CYCLE_1)
	s_ashr_i32 s19, s14, 1
	s_sub_i32 s14, s10, s20
	s_mul_i32 s8, s19, s8
	s_mov_b32 s20, 0
	s_ashr_i32 s15, s14, 31
	v_cmpx_gt_i32_e64 s8, v0
	s_cbranch_execz .LBB7_3
; %bb.1:
	s_clause 0x1
	s_load_b64 s[22:23], s[0:1], 0x8
	s_load_b32 s28, s[0:1], 0x5c
	s_lshl_b64 s[24:25], s[14:15], 1
	s_mul_i32 s5, s2, s5
	s_mul_hi_u32 s26, s2, s4
	s_mul_i32 s27, s3, s4
	s_mul_i32 s4, s2, s4
	s_waitcnt lgkmcnt(0)
	s_add_u32 s22, s22, s24
	s_addc_u32 s23, s23, s25
	s_add_i32 s5, s26, s5
	s_delay_alu instid0(SALU_CYCLE_1) | instskip(NEXT) | instid1(SALU_CYCLE_1)
	s_add_i32 s5, s5, s27
	s_lshl_b64 s[4:5], s[4:5], 1
	s_delay_alu instid0(SALU_CYCLE_1)
	s_add_u32 s4, s22, s4
	s_addc_u32 s5, s23, s5
	s_abs_i32 s22, s19
	s_lshl_b32 s25, s19, 1
	v_cvt_f32_u32_e32 v2, s22
	s_sub_i32 s23, 0, s22
	s_ashr_i32 s24, s19, 31
	s_sub_i32 s25, 0, s25
	s_sub_i32 s27, 0, s19
	v_rcp_iflag_f32_e32 v2, v2
	s_waitcnt_depctr 0xfff
	v_mul_f32_e32 v2, 0x4f7ffffe, v2
	s_delay_alu instid0(VALU_DEP_1) | instskip(NEXT) | instid1(VALU_DEP_1)
	v_cvt_u32_f32_e32 v3, v2
	v_mul_lo_u32 v2, s23, v3
	s_and_b32 s23, s28, 0xffff
	s_delay_alu instid0(SALU_CYCLE_1) | instskip(NEXT) | instid1(VALU_DEP_1)
	s_lshl_b32 s26, s23, 1
	v_mul_hi_u32 v4, v3, v2
	v_lshlrev_b32_e32 v2, 1, v0
	s_delay_alu instid0(VALU_DEP_2)
	v_dual_mov_b32 v3, v0 :: v_dual_add_nc_u32 v4, v3, v4
.LBB7_2:                                ; =>This Inner Loop Header: Depth=1
	s_delay_alu instid0(VALU_DEP_1) | instskip(SKIP_1) | instid1(VALU_DEP_2)
	v_sub_nc_u32_e32 v5, 0, v3
	v_ashrrev_i32_e32 v6, 31, v3
	v_max_i32_e32 v5, v3, v5
	s_delay_alu instid0(VALU_DEP_2) | instskip(NEXT) | instid1(VALU_DEP_2)
	v_xor_b32_e32 v6, s24, v6
	v_mul_hi_u32 v7, v5, v4
	s_delay_alu instid0(VALU_DEP_1) | instskip(SKIP_1) | instid1(VALU_DEP_2)
	v_mul_lo_u32 v8, v7, s22
	v_add_nc_u32_e32 v9, 1, v7
	v_sub_nc_u32_e32 v5, v5, v8
	s_delay_alu instid0(VALU_DEP_1) | instskip(SKIP_1) | instid1(VALU_DEP_4)
	v_subrev_nc_u32_e32 v8, s22, v5
	v_cmp_le_u32_e32 vcc_lo, s22, v5
	v_cndmask_b32_e32 v7, v7, v9, vcc_lo
	s_delay_alu instid0(VALU_DEP_1) | instskip(NEXT) | instid1(VALU_DEP_1)
	v_dual_cndmask_b32 v5, v5, v8 :: v_dual_add_nc_u32 v8, 1, v7
	v_cmp_le_u32_e32 vcc_lo, s22, v5
	s_delay_alu instid0(VALU_DEP_2) | instskip(NEXT) | instid1(VALU_DEP_1)
	v_cndmask_b32_e32 v5, v7, v8, vcc_lo
	v_xor_b32_e32 v5, v5, v6
	s_delay_alu instid0(VALU_DEP_1) | instskip(NEXT) | instid1(VALU_DEP_1)
	v_sub_nc_u32_e32 v6, v5, v6
	v_mul_lo_u32 v5, v6, s10
	v_mad_u64_u32 v[7:8], null, s27, v6, v[3:4]
	v_mad_u64_u32 v[9:10], null, s25, v6, v[2:3]
	v_add_nc_u32_e32 v3, s23, v3
	v_add_nc_u32_e32 v2, s26, v2
	v_ashrrev_i32_e32 v6, 31, v5
	v_ashrrev_i32_e32 v8, 31, v7
	;; [unrolled: 1-line block ×3, first 2 shown]
	s_delay_alu instid0(VALU_DEP_3) | instskip(NEXT) | instid1(VALU_DEP_3)
	v_lshlrev_b64 v[5:6], 1, v[5:6]
	v_lshlrev_b64 v[7:8], 1, v[7:8]
	s_delay_alu instid0(VALU_DEP_3) | instskip(NEXT) | instid1(VALU_DEP_3)
	v_lshlrev_b64 v[9:10], 1, v[9:10]
	v_add_co_u32 v11, vcc_lo, s4, v5
	s_delay_alu instid0(VALU_DEP_4) | instskip(NEXT) | instid1(VALU_DEP_4)
	v_add_co_ci_u32_e32 v12, vcc_lo, s5, v6, vcc_lo
	v_add_co_u32 v5, vcc_lo, s11, v7
	v_add_co_ci_u32_e32 v6, vcc_lo, s16, v8, vcc_lo
	s_delay_alu instid0(VALU_DEP_4) | instskip(NEXT) | instid1(VALU_DEP_4)
	v_add_co_u32 v9, vcc_lo, v11, v9
	v_add_co_ci_u32_e32 v10, vcc_lo, v12, v10, vcc_lo
	v_add_co_u32 v7, vcc_lo, s17, v7
	v_add_co_ci_u32_e32 v8, vcc_lo, s18, v8, vcc_lo
	global_load_b32 v11, v[9:10], off
	global_load_u16 v7, v[7:8], off
	global_load_u16 v5, v[5:6], off
	v_cmp_le_i32_e32 vcc_lo, s8, v3
	s_or_b32 s20, vcc_lo, s20
	s_waitcnt vmcnt(2)
	v_lshrrev_b32_e32 v6, 16, v11
	s_waitcnt vmcnt(1)
	s_delay_alu instid0(VALU_DEP_1) | instskip(SKIP_2) | instid1(VALU_DEP_2)
	v_mul_f16_e32 v8, v7, v6
	s_waitcnt vmcnt(0)
	v_mul_f16_e32 v6, v5, v6
	v_fma_f16 v5, v5, v11, -v8
	s_delay_alu instid0(VALU_DEP_2) | instskip(NEXT) | instid1(VALU_DEP_1)
	v_fmac_f16_e32 v6, v7, v11
	v_pack_b32_f16 v5, v5, v6
	global_store_b32 v[9:10], v5, off
	s_and_not1_b32 exec_lo, exec_lo, s20
	s_cbranch_execnz .LBB7_2
.LBB7_3:
	s_or_b32 exec_lo, exec_lo, s21
	s_mul_i32 s4, s19, s9
	s_mov_b32 s5, exec_lo
	v_cmpx_gt_i32_e64 s4, v0
	s_cbranch_execz .LBB7_6
; %bb.4:
	s_lshl_b64 s[8:9], s[14:15], 1
	s_mul_i32 s5, s2, s7
	s_add_u32 s7, s12, s8
	s_mul_hi_u32 s8, s2, s6
	s_addc_u32 s9, s13, s9
	s_add_i32 s5, s8, s5
	s_mul_i32 s3, s3, s6
	s_mul_i32 s2, s2, s6
	s_add_i32 s3, s5, s3
	s_load_b32 s0, s[0:1], 0x5c
	s_lshl_b64 s[2:3], s[2:3], 1
	s_mov_b32 s6, 0
	s_add_u32 s2, s7, s2
	s_addc_u32 s3, s9, s3
	s_abs_i32 s5, s19
	s_lshl_b32 s7, s19, 1
	v_cvt_f32_u32_e32 v2, s5
	s_sub_i32 s1, 0, s5
	s_sub_i32 s7, 0, s7
	;; [unrolled: 1-line block ×3, first 2 shown]
	s_delay_alu instid0(VALU_DEP_1)
	v_rcp_iflag_f32_e32 v2, v2
	s_waitcnt lgkmcnt(0)
	s_and_b32 s0, s0, 0xffff
	s_waitcnt_depctr 0xfff
	v_mul_f32_e32 v2, 0x4f7ffffe, v2
	s_lshl_b32 s8, s0, 1
	s_delay_alu instid0(VALU_DEP_1) | instskip(NEXT) | instid1(VALU_DEP_1)
	v_cvt_u32_f32_e32 v2, v2
	v_mul_lo_u32 v3, s1, v2
	s_ashr_i32 s1, s19, 31
	s_delay_alu instid0(VALU_DEP_1) | instskip(NEXT) | instid1(VALU_DEP_1)
	v_mul_hi_u32 v3, v2, v3
	v_add_nc_u32_e32 v2, v2, v3
.LBB7_5:                                ; =>This Inner Loop Header: Depth=1
	v_sub_nc_u32_e32 v3, 0, v0
	v_ashrrev_i32_e32 v4, 31, v0
	s_delay_alu instid0(VALU_DEP_2) | instskip(NEXT) | instid1(VALU_DEP_2)
	v_max_i32_e32 v3, v0, v3
	v_xor_b32_e32 v4, s1, v4
	s_delay_alu instid0(VALU_DEP_2) | instskip(NEXT) | instid1(VALU_DEP_1)
	v_mul_hi_u32 v5, v3, v2
	v_mul_lo_u32 v6, v5, s5
	v_add_nc_u32_e32 v7, 1, v5
	s_delay_alu instid0(VALU_DEP_2) | instskip(NEXT) | instid1(VALU_DEP_1)
	v_sub_nc_u32_e32 v3, v3, v6
	v_subrev_nc_u32_e32 v6, s5, v3
	v_cmp_le_u32_e32 vcc_lo, s5, v3
	s_delay_alu instid0(VALU_DEP_4) | instskip(NEXT) | instid1(VALU_DEP_1)
	v_cndmask_b32_e32 v5, v5, v7, vcc_lo
	v_dual_cndmask_b32 v3, v3, v6 :: v_dual_add_nc_u32 v6, 1, v5
	s_delay_alu instid0(VALU_DEP_1) | instskip(NEXT) | instid1(VALU_DEP_2)
	v_cmp_le_u32_e32 vcc_lo, s5, v3
	v_cndmask_b32_e32 v3, v5, v6, vcc_lo
	s_delay_alu instid0(VALU_DEP_1) | instskip(NEXT) | instid1(VALU_DEP_1)
	v_xor_b32_e32 v3, v3, v4
	v_sub_nc_u32_e32 v4, v3, v4
	s_delay_alu instid0(VALU_DEP_1)
	v_mul_lo_u32 v3, v4, s10
	v_mad_u64_u32 v[5:6], null, s9, v4, v[0:1]
	v_mad_u64_u32 v[7:8], null, s7, v4, v[1:2]
	v_add_nc_u32_e32 v0, s0, v0
	v_add_nc_u32_e32 v1, s8, v1
	v_ashrrev_i32_e32 v4, 31, v3
	v_ashrrev_i32_e32 v6, 31, v5
	;; [unrolled: 1-line block ×3, first 2 shown]
	s_delay_alu instid0(VALU_DEP_3) | instskip(NEXT) | instid1(VALU_DEP_3)
	v_lshlrev_b64 v[3:4], 1, v[3:4]
	v_lshlrev_b64 v[5:6], 1, v[5:6]
	s_delay_alu instid0(VALU_DEP_3) | instskip(NEXT) | instid1(VALU_DEP_3)
	v_lshlrev_b64 v[7:8], 1, v[7:8]
	v_add_co_u32 v9, vcc_lo, s2, v3
	s_delay_alu instid0(VALU_DEP_4) | instskip(NEXT) | instid1(VALU_DEP_4)
	v_add_co_ci_u32_e32 v10, vcc_lo, s3, v4, vcc_lo
	v_add_co_u32 v3, vcc_lo, s11, v5
	v_add_co_ci_u32_e32 v4, vcc_lo, s16, v6, vcc_lo
	s_delay_alu instid0(VALU_DEP_4) | instskip(NEXT) | instid1(VALU_DEP_4)
	v_add_co_u32 v7, vcc_lo, v9, v7
	v_add_co_ci_u32_e32 v8, vcc_lo, v10, v8, vcc_lo
	v_add_co_u32 v5, vcc_lo, s17, v5
	v_add_co_ci_u32_e32 v6, vcc_lo, s18, v6, vcc_lo
	global_load_b32 v9, v[7:8], off
	global_load_u16 v5, v[5:6], off
	global_load_u16 v3, v[3:4], off
	v_cmp_le_i32_e32 vcc_lo, s4, v0
	s_or_b32 s6, vcc_lo, s6
	s_waitcnt vmcnt(2)
	v_lshrrev_b32_e32 v4, 16, v9
	s_waitcnt vmcnt(1)
	s_delay_alu instid0(VALU_DEP_1) | instskip(SKIP_2) | instid1(VALU_DEP_2)
	v_mul_f16_e32 v6, v5, v4
	s_waitcnt vmcnt(0)
	v_mul_f16_e32 v4, v3, v4
	v_fma_f16 v3, v3, v9, -v6
	s_delay_alu instid0(VALU_DEP_2) | instskip(NEXT) | instid1(VALU_DEP_1)
	v_fmac_f16_e32 v4, v5, v9
	v_pack_b32_f16 v3, v3, v4
	global_store_b32 v[7:8], v3, off
	s_and_not1_b32 exec_lo, exec_lo, s6
	s_cbranch_execnz .LBB7_5
.LBB7_6:
	s_nop 0
	s_sendmsg sendmsg(MSG_DEALLOC_VGPRS)
	s_endpgm
	.section	.rodata,"a",@progbits
	.p2align	6, 0x0
	.amdhsa_kernel _ZN4vllm23rotary_embedding_kernelIN3c104HalfELb0ELb1EEEvPKlPT_S6_PKS5_S8_illiii
		.amdhsa_group_segment_fixed_size 0
		.amdhsa_private_segment_fixed_size 0
		.amdhsa_kernarg_size 336
		.amdhsa_user_sgpr_count 15
		.amdhsa_user_sgpr_dispatch_ptr 0
		.amdhsa_user_sgpr_queue_ptr 0
		.amdhsa_user_sgpr_kernarg_segment_ptr 1
		.amdhsa_user_sgpr_dispatch_id 0
		.amdhsa_user_sgpr_private_segment_size 0
		.amdhsa_wavefront_size32 1
		.amdhsa_uses_dynamic_stack 0
		.amdhsa_enable_private_segment 0
		.amdhsa_system_sgpr_workgroup_id_x 1
		.amdhsa_system_sgpr_workgroup_id_y 0
		.amdhsa_system_sgpr_workgroup_id_z 0
		.amdhsa_system_sgpr_workgroup_info 0
		.amdhsa_system_vgpr_workitem_id 0
		.amdhsa_next_free_vgpr 13
		.amdhsa_next_free_sgpr 29
		.amdhsa_reserve_vcc 1
		.amdhsa_float_round_mode_32 0
		.amdhsa_float_round_mode_16_64 0
		.amdhsa_float_denorm_mode_32 3
		.amdhsa_float_denorm_mode_16_64 3
		.amdhsa_dx10_clamp 1
		.amdhsa_ieee_mode 1
		.amdhsa_fp16_overflow 0
		.amdhsa_workgroup_processor_mode 1
		.amdhsa_memory_ordered 1
		.amdhsa_forward_progress 0
		.amdhsa_shared_vgpr_count 0
		.amdhsa_exception_fp_ieee_invalid_op 0
		.amdhsa_exception_fp_denorm_src 0
		.amdhsa_exception_fp_ieee_div_zero 0
		.amdhsa_exception_fp_ieee_overflow 0
		.amdhsa_exception_fp_ieee_underflow 0
		.amdhsa_exception_fp_ieee_inexact 0
		.amdhsa_exception_int_div_zero 0
	.end_amdhsa_kernel
	.section	.text._ZN4vllm23rotary_embedding_kernelIN3c104HalfELb0ELb1EEEvPKlPT_S6_PKS5_S8_illiii,"axG",@progbits,_ZN4vllm23rotary_embedding_kernelIN3c104HalfELb0ELb1EEEvPKlPT_S6_PKS5_S8_illiii,comdat
.Lfunc_end7:
	.size	_ZN4vllm23rotary_embedding_kernelIN3c104HalfELb0ELb1EEEvPKlPT_S6_PKS5_S8_illiii, .Lfunc_end7-_ZN4vllm23rotary_embedding_kernelIN3c104HalfELb0ELb1EEEvPKlPT_S6_PKS5_S8_illiii
                                        ; -- End function
	.section	.AMDGPU.csdata,"",@progbits
; Kernel info:
; codeLenInByte = 1248
; NumSgprs: 31
; NumVgprs: 13
; ScratchSize: 0
; MemoryBound: 0
; FloatMode: 240
; IeeeMode: 1
; LDSByteSize: 0 bytes/workgroup (compile time only)
; SGPRBlocks: 3
; VGPRBlocks: 1
; NumSGPRsForWavesPerEU: 31
; NumVGPRsForWavesPerEU: 13
; Occupancy: 16
; WaveLimiterHint : 1
; COMPUTE_PGM_RSRC2:SCRATCH_EN: 0
; COMPUTE_PGM_RSRC2:USER_SGPR: 15
; COMPUTE_PGM_RSRC2:TRAP_HANDLER: 0
; COMPUTE_PGM_RSRC2:TGID_X_EN: 1
; COMPUTE_PGM_RSRC2:TGID_Y_EN: 0
; COMPUTE_PGM_RSRC2:TGID_Z_EN: 0
; COMPUTE_PGM_RSRC2:TIDIG_COMP_CNT: 0
	.section	.text._ZN4vllm23rotary_embedding_kernelIN3c104HalfELb0ELb0EEEvPKlPT_S6_PKS5_S8_illiii,"axG",@progbits,_ZN4vllm23rotary_embedding_kernelIN3c104HalfELb0ELb0EEEvPKlPT_S6_PKS5_S8_illiii,comdat
	.protected	_ZN4vllm23rotary_embedding_kernelIN3c104HalfELb0ELb0EEEvPKlPT_S6_PKS5_S8_illiii ; -- Begin function _ZN4vllm23rotary_embedding_kernelIN3c104HalfELb0ELb0EEEvPKlPT_S6_PKS5_S8_illiii
	.globl	_ZN4vllm23rotary_embedding_kernelIN3c104HalfELb0ELb0EEEvPKlPT_S6_PKS5_S8_illiii
	.p2align	8
	.type	_ZN4vllm23rotary_embedding_kernelIN3c104HalfELb0ELb0EEEvPKlPT_S6_PKS5_S8_illiii,@function
_ZN4vllm23rotary_embedding_kernelIN3c104HalfELb0ELb0EEEvPKlPT_S6_PKS5_S8_illiii: ; @_ZN4vllm23rotary_embedding_kernelIN3c104HalfELb0ELb0EEEvPKlPT_S6_PKS5_S8_illiii
; %bb.0:
	s_clause 0x1
	s_load_b32 s20, s[0:1], 0x28
	s_load_b64 s[4:5], s[0:1], 0x0
	s_mov_b32 s2, s15
	s_ashr_i32 s3, s15, 31
	s_load_b128 s[12:15], s[0:1], 0x10
	s_lshl_b64 s[6:7], s[2:3], 3
	v_lshlrev_b32_e32 v1, 1, v0
	s_waitcnt lgkmcnt(0)
	s_ashr_i32 s21, s20, 31
	s_add_u32 s4, s4, s6
	s_addc_u32 s5, s5, s7
	s_load_b64 s[16:17], s[4:5], 0x0
	s_clause 0x1
	s_load_b64 s[18:19], s[0:1], 0x20
	s_load_b256 s[4:11], s[0:1], 0x30
	s_waitcnt lgkmcnt(0)
	s_mul_i32 s11, s16, s21
	s_mul_hi_u32 s21, s16, s20
	s_mul_i32 s17, s17, s20
	s_add_i32 s11, s21, s11
	s_mul_i32 s16, s16, s20
	s_add_i32 s11, s11, s17
	s_delay_alu instid0(SALU_CYCLE_1) | instskip(NEXT) | instid1(SALU_CYCLE_1)
	s_lshr_b32 s17, s11, 31
	s_add_u32 s16, s16, s17
	s_addc_u32 s17, s11, 0
	s_and_b32 s16, s16, -2
	s_delay_alu instid0(SALU_CYCLE_1)
	s_add_u32 s11, s14, s16
	s_addc_u32 s14, s15, s17
	s_add_u32 s15, s18, s16
	s_addc_u32 s16, s19, s17
	s_lshr_b32 s17, s20, 31
	s_mov_b32 s19, 0
	s_add_i32 s20, s20, s17
	s_mov_b32 s18, exec_lo
	s_ashr_i32 s17, s20, 1
	s_delay_alu instid0(SALU_CYCLE_1) | instskip(NEXT) | instid1(SALU_CYCLE_1)
	s_mul_i32 s8, s17, s8
	v_cmpx_gt_i32_e64 s8, v0
	s_cbranch_execz .LBB8_3
; %bb.1:
	s_load_b64 s[20:21], s[0:1], 0x8
	s_mul_i32 s5, s2, s5
	s_mul_hi_u32 s22, s2, s4
	s_mul_i32 s23, s3, s4
	s_add_i32 s5, s22, s5
	s_load_b32 s22, s[0:1], 0x5c
	s_mul_i32 s4, s2, s4
	s_add_i32 s5, s5, s23
	s_delay_alu instid0(SALU_CYCLE_1)
	s_lshl_b64 s[4:5], s[4:5], 1
	s_waitcnt lgkmcnt(0)
	s_add_u32 s4, s20, s4
	s_addc_u32 s5, s21, s5
	s_abs_i32 s20, s17
	s_lshl_b32 s23, s17, 1
	v_cvt_f32_u32_e32 v2, s20
	s_sub_i32 s21, 0, s20
	s_sub_i32 s23, 0, s23
	;; [unrolled: 1-line block ×3, first 2 shown]
	s_delay_alu instid0(VALU_DEP_1) | instskip(SKIP_2) | instid1(VALU_DEP_1)
	v_rcp_iflag_f32_e32 v2, v2
	s_waitcnt_depctr 0xfff
	v_mul_f32_e32 v2, 0x4f7ffffe, v2
	v_cvt_u32_f32_e32 v3, v2
	s_delay_alu instid0(VALU_DEP_1) | instskip(SKIP_3) | instid1(VALU_DEP_1)
	v_mul_lo_u32 v2, s21, v3
	s_and_b32 s21, s22, 0xffff
	s_ashr_i32 s22, s17, 31
	s_lshl_b32 s24, s21, 1
	v_mul_hi_u32 v4, v3, v2
	v_lshlrev_b32_e32 v2, 1, v0
	s_delay_alu instid0(VALU_DEP_2)
	v_dual_mov_b32 v3, v0 :: v_dual_add_nc_u32 v4, v3, v4
.LBB8_2:                                ; =>This Inner Loop Header: Depth=1
	s_delay_alu instid0(VALU_DEP_1) | instskip(SKIP_1) | instid1(VALU_DEP_2)
	v_sub_nc_u32_e32 v5, 0, v3
	v_ashrrev_i32_e32 v6, 31, v3
	v_max_i32_e32 v5, v3, v5
	s_delay_alu instid0(VALU_DEP_2) | instskip(NEXT) | instid1(VALU_DEP_2)
	v_xor_b32_e32 v6, s22, v6
	v_mul_hi_u32 v7, v5, v4
	s_delay_alu instid0(VALU_DEP_1) | instskip(SKIP_1) | instid1(VALU_DEP_2)
	v_mul_lo_u32 v8, v7, s20
	v_add_nc_u32_e32 v9, 1, v7
	v_sub_nc_u32_e32 v5, v5, v8
	s_delay_alu instid0(VALU_DEP_1) | instskip(SKIP_1) | instid1(VALU_DEP_4)
	v_subrev_nc_u32_e32 v8, s20, v5
	v_cmp_le_u32_e32 vcc_lo, s20, v5
	v_cndmask_b32_e32 v7, v7, v9, vcc_lo
	s_delay_alu instid0(VALU_DEP_1) | instskip(NEXT) | instid1(VALU_DEP_1)
	v_dual_cndmask_b32 v5, v5, v8 :: v_dual_add_nc_u32 v8, 1, v7
	v_cmp_le_u32_e32 vcc_lo, s20, v5
	s_delay_alu instid0(VALU_DEP_2) | instskip(NEXT) | instid1(VALU_DEP_1)
	v_cndmask_b32_e32 v5, v7, v8, vcc_lo
	v_xor_b32_e32 v5, v5, v6
	s_delay_alu instid0(VALU_DEP_1) | instskip(NEXT) | instid1(VALU_DEP_1)
	v_sub_nc_u32_e32 v6, v5, v6
	v_mul_lo_u32 v5, v6, s10
	v_mad_u64_u32 v[7:8], null, s25, v6, v[3:4]
	v_mad_u64_u32 v[9:10], null, s23, v6, v[2:3]
	v_add_nc_u32_e32 v3, s21, v3
	v_add_nc_u32_e32 v2, s24, v2
	v_ashrrev_i32_e32 v6, 31, v5
	v_ashrrev_i32_e32 v8, 31, v7
	;; [unrolled: 1-line block ×3, first 2 shown]
	s_delay_alu instid0(VALU_DEP_3) | instskip(NEXT) | instid1(VALU_DEP_3)
	v_lshlrev_b64 v[5:6], 1, v[5:6]
	v_lshlrev_b64 v[7:8], 1, v[7:8]
	s_delay_alu instid0(VALU_DEP_3) | instskip(NEXT) | instid1(VALU_DEP_3)
	v_lshlrev_b64 v[9:10], 1, v[9:10]
	v_add_co_u32 v11, vcc_lo, s4, v5
	s_delay_alu instid0(VALU_DEP_4) | instskip(NEXT) | instid1(VALU_DEP_4)
	v_add_co_ci_u32_e32 v12, vcc_lo, s5, v6, vcc_lo
	v_add_co_u32 v5, vcc_lo, s11, v7
	v_add_co_ci_u32_e32 v6, vcc_lo, s14, v8, vcc_lo
	s_delay_alu instid0(VALU_DEP_4) | instskip(NEXT) | instid1(VALU_DEP_4)
	v_add_co_u32 v9, vcc_lo, v11, v9
	v_add_co_ci_u32_e32 v10, vcc_lo, v12, v10, vcc_lo
	v_add_co_u32 v7, vcc_lo, s15, v7
	v_add_co_ci_u32_e32 v8, vcc_lo, s16, v8, vcc_lo
	global_load_b32 v11, v[9:10], off
	global_load_u16 v7, v[7:8], off
	global_load_u16 v5, v[5:6], off
	v_cmp_le_i32_e32 vcc_lo, s8, v3
	s_or_b32 s19, vcc_lo, s19
	s_waitcnt vmcnt(2)
	v_lshrrev_b32_e32 v6, 16, v11
	s_waitcnt vmcnt(1)
	s_delay_alu instid0(VALU_DEP_1) | instskip(SKIP_2) | instid1(VALU_DEP_2)
	v_mul_f16_e32 v8, v7, v6
	s_waitcnt vmcnt(0)
	v_mul_f16_e32 v6, v5, v6
	v_fma_f16 v5, v5, v11, -v8
	s_delay_alu instid0(VALU_DEP_2) | instskip(NEXT) | instid1(VALU_DEP_1)
	v_fmac_f16_e32 v6, v7, v11
	v_pack_b32_f16 v5, v5, v6
	global_store_b32 v[9:10], v5, off
	s_and_not1_b32 exec_lo, exec_lo, s19
	s_cbranch_execnz .LBB8_2
.LBB8_3:
	s_or_b32 exec_lo, exec_lo, s18
	s_mul_i32 s4, s17, s9
	s_mov_b32 s5, exec_lo
	v_cmpx_gt_i32_e64 s4, v0
	s_cbranch_execz .LBB8_6
; %bb.4:
	s_mul_i32 s5, s2, s7
	s_mul_hi_u32 s7, s2, s6
	s_mul_i32 s3, s3, s6
	s_add_i32 s5, s7, s5
	s_mul_i32 s2, s2, s6
	s_add_i32 s3, s5, s3
	s_load_b32 s0, s[0:1], 0x5c
	s_lshl_b64 s[2:3], s[2:3], 1
	s_mov_b32 s6, 0
	s_add_u32 s2, s12, s2
	s_addc_u32 s3, s13, s3
	s_abs_i32 s5, s17
	s_lshl_b32 s7, s17, 1
	v_cvt_f32_u32_e32 v2, s5
	s_sub_i32 s1, 0, s5
	s_sub_i32 s7, 0, s7
	;; [unrolled: 1-line block ×3, first 2 shown]
	s_delay_alu instid0(VALU_DEP_1)
	v_rcp_iflag_f32_e32 v2, v2
	s_waitcnt lgkmcnt(0)
	s_and_b32 s0, s0, 0xffff
	s_waitcnt_depctr 0xfff
	v_mul_f32_e32 v2, 0x4f7ffffe, v2
	s_lshl_b32 s8, s0, 1
	s_delay_alu instid0(VALU_DEP_1) | instskip(NEXT) | instid1(VALU_DEP_1)
	v_cvt_u32_f32_e32 v2, v2
	v_mul_lo_u32 v3, s1, v2
	s_ashr_i32 s1, s17, 31
	s_delay_alu instid0(VALU_DEP_1) | instskip(NEXT) | instid1(VALU_DEP_1)
	v_mul_hi_u32 v3, v2, v3
	v_add_nc_u32_e32 v2, v2, v3
.LBB8_5:                                ; =>This Inner Loop Header: Depth=1
	v_sub_nc_u32_e32 v3, 0, v0
	v_ashrrev_i32_e32 v4, 31, v0
	s_delay_alu instid0(VALU_DEP_2) | instskip(NEXT) | instid1(VALU_DEP_2)
	v_max_i32_e32 v3, v0, v3
	v_xor_b32_e32 v4, s1, v4
	s_delay_alu instid0(VALU_DEP_2) | instskip(NEXT) | instid1(VALU_DEP_1)
	v_mul_hi_u32 v5, v3, v2
	v_mul_lo_u32 v6, v5, s5
	v_add_nc_u32_e32 v7, 1, v5
	s_delay_alu instid0(VALU_DEP_2) | instskip(NEXT) | instid1(VALU_DEP_1)
	v_sub_nc_u32_e32 v3, v3, v6
	v_subrev_nc_u32_e32 v6, s5, v3
	v_cmp_le_u32_e32 vcc_lo, s5, v3
	s_delay_alu instid0(VALU_DEP_4) | instskip(NEXT) | instid1(VALU_DEP_1)
	v_cndmask_b32_e32 v5, v5, v7, vcc_lo
	v_dual_cndmask_b32 v3, v3, v6 :: v_dual_add_nc_u32 v6, 1, v5
	s_delay_alu instid0(VALU_DEP_1) | instskip(NEXT) | instid1(VALU_DEP_2)
	v_cmp_le_u32_e32 vcc_lo, s5, v3
	v_cndmask_b32_e32 v3, v5, v6, vcc_lo
	s_delay_alu instid0(VALU_DEP_1) | instskip(NEXT) | instid1(VALU_DEP_1)
	v_xor_b32_e32 v3, v3, v4
	v_sub_nc_u32_e32 v4, v3, v4
	s_delay_alu instid0(VALU_DEP_1)
	v_mul_lo_u32 v3, v4, s10
	v_mad_u64_u32 v[5:6], null, s9, v4, v[0:1]
	v_mad_u64_u32 v[7:8], null, s7, v4, v[1:2]
	v_add_nc_u32_e32 v0, s0, v0
	v_add_nc_u32_e32 v1, s8, v1
	v_ashrrev_i32_e32 v4, 31, v3
	v_ashrrev_i32_e32 v6, 31, v5
	;; [unrolled: 1-line block ×3, first 2 shown]
	s_delay_alu instid0(VALU_DEP_3) | instskip(NEXT) | instid1(VALU_DEP_3)
	v_lshlrev_b64 v[3:4], 1, v[3:4]
	v_lshlrev_b64 v[5:6], 1, v[5:6]
	s_delay_alu instid0(VALU_DEP_3) | instskip(NEXT) | instid1(VALU_DEP_3)
	v_lshlrev_b64 v[7:8], 1, v[7:8]
	v_add_co_u32 v9, vcc_lo, s2, v3
	s_delay_alu instid0(VALU_DEP_4) | instskip(NEXT) | instid1(VALU_DEP_4)
	v_add_co_ci_u32_e32 v10, vcc_lo, s3, v4, vcc_lo
	v_add_co_u32 v3, vcc_lo, s11, v5
	v_add_co_ci_u32_e32 v4, vcc_lo, s14, v6, vcc_lo
	s_delay_alu instid0(VALU_DEP_4) | instskip(NEXT) | instid1(VALU_DEP_4)
	v_add_co_u32 v7, vcc_lo, v9, v7
	v_add_co_ci_u32_e32 v8, vcc_lo, v10, v8, vcc_lo
	v_add_co_u32 v5, vcc_lo, s15, v5
	v_add_co_ci_u32_e32 v6, vcc_lo, s16, v6, vcc_lo
	global_load_b32 v9, v[7:8], off
	global_load_u16 v5, v[5:6], off
	global_load_u16 v3, v[3:4], off
	v_cmp_le_i32_e32 vcc_lo, s4, v0
	s_or_b32 s6, vcc_lo, s6
	s_waitcnt vmcnt(2)
	v_lshrrev_b32_e32 v4, 16, v9
	s_waitcnt vmcnt(1)
	s_delay_alu instid0(VALU_DEP_1) | instskip(SKIP_2) | instid1(VALU_DEP_2)
	v_mul_f16_e32 v6, v5, v4
	s_waitcnt vmcnt(0)
	v_mul_f16_e32 v4, v3, v4
	v_fma_f16 v3, v3, v9, -v6
	s_delay_alu instid0(VALU_DEP_2) | instskip(NEXT) | instid1(VALU_DEP_1)
	v_fmac_f16_e32 v4, v5, v9
	v_pack_b32_f16 v3, v3, v4
	global_store_b32 v[7:8], v3, off
	s_and_not1_b32 exec_lo, exec_lo, s6
	s_cbranch_execnz .LBB8_5
.LBB8_6:
	s_nop 0
	s_sendmsg sendmsg(MSG_DEALLOC_VGPRS)
	s_endpgm
	.section	.rodata,"a",@progbits
	.p2align	6, 0x0
	.amdhsa_kernel _ZN4vllm23rotary_embedding_kernelIN3c104HalfELb0ELb0EEEvPKlPT_S6_PKS5_S8_illiii
		.amdhsa_group_segment_fixed_size 0
		.amdhsa_private_segment_fixed_size 0
		.amdhsa_kernarg_size 336
		.amdhsa_user_sgpr_count 15
		.amdhsa_user_sgpr_dispatch_ptr 0
		.amdhsa_user_sgpr_queue_ptr 0
		.amdhsa_user_sgpr_kernarg_segment_ptr 1
		.amdhsa_user_sgpr_dispatch_id 0
		.amdhsa_user_sgpr_private_segment_size 0
		.amdhsa_wavefront_size32 1
		.amdhsa_uses_dynamic_stack 0
		.amdhsa_enable_private_segment 0
		.amdhsa_system_sgpr_workgroup_id_x 1
		.amdhsa_system_sgpr_workgroup_id_y 0
		.amdhsa_system_sgpr_workgroup_id_z 0
		.amdhsa_system_sgpr_workgroup_info 0
		.amdhsa_system_vgpr_workitem_id 0
		.amdhsa_next_free_vgpr 13
		.amdhsa_next_free_sgpr 26
		.amdhsa_reserve_vcc 1
		.amdhsa_float_round_mode_32 0
		.amdhsa_float_round_mode_16_64 0
		.amdhsa_float_denorm_mode_32 3
		.amdhsa_float_denorm_mode_16_64 3
		.amdhsa_dx10_clamp 1
		.amdhsa_ieee_mode 1
		.amdhsa_fp16_overflow 0
		.amdhsa_workgroup_processor_mode 1
		.amdhsa_memory_ordered 1
		.amdhsa_forward_progress 0
		.amdhsa_shared_vgpr_count 0
		.amdhsa_exception_fp_ieee_invalid_op 0
		.amdhsa_exception_fp_denorm_src 0
		.amdhsa_exception_fp_ieee_div_zero 0
		.amdhsa_exception_fp_ieee_overflow 0
		.amdhsa_exception_fp_ieee_underflow 0
		.amdhsa_exception_fp_ieee_inexact 0
		.amdhsa_exception_int_div_zero 0
	.end_amdhsa_kernel
	.section	.text._ZN4vllm23rotary_embedding_kernelIN3c104HalfELb0ELb0EEEvPKlPT_S6_PKS5_S8_illiii,"axG",@progbits,_ZN4vllm23rotary_embedding_kernelIN3c104HalfELb0ELb0EEEvPKlPT_S6_PKS5_S8_illiii,comdat
.Lfunc_end8:
	.size	_ZN4vllm23rotary_embedding_kernelIN3c104HalfELb0ELb0EEEvPKlPT_S6_PKS5_S8_illiii, .Lfunc_end8-_ZN4vllm23rotary_embedding_kernelIN3c104HalfELb0ELb0EEEvPKlPT_S6_PKS5_S8_illiii
                                        ; -- End function
	.section	.AMDGPU.csdata,"",@progbits
; Kernel info:
; codeLenInByte = 1208
; NumSgprs: 28
; NumVgprs: 13
; ScratchSize: 0
; MemoryBound: 0
; FloatMode: 240
; IeeeMode: 1
; LDSByteSize: 0 bytes/workgroup (compile time only)
; SGPRBlocks: 3
; VGPRBlocks: 1
; NumSGPRsForWavesPerEU: 28
; NumVGPRsForWavesPerEU: 13
; Occupancy: 16
; WaveLimiterHint : 1
; COMPUTE_PGM_RSRC2:SCRATCH_EN: 0
; COMPUTE_PGM_RSRC2:USER_SGPR: 15
; COMPUTE_PGM_RSRC2:TRAP_HANDLER: 0
; COMPUTE_PGM_RSRC2:TGID_X_EN: 1
; COMPUTE_PGM_RSRC2:TGID_Y_EN: 0
; COMPUTE_PGM_RSRC2:TGID_Z_EN: 0
; COMPUTE_PGM_RSRC2:TIDIG_COMP_CNT: 0
	.section	.text._ZN4vllm23rotary_embedding_kernelIN3c108BFloat16ELb1ELb1EEEvPKlPT_S6_PKS5_S8_illiii,"axG",@progbits,_ZN4vllm23rotary_embedding_kernelIN3c108BFloat16ELb1ELb1EEEvPKlPT_S6_PKS5_S8_illiii,comdat
	.protected	_ZN4vllm23rotary_embedding_kernelIN3c108BFloat16ELb1ELb1EEEvPKlPT_S6_PKS5_S8_illiii ; -- Begin function _ZN4vllm23rotary_embedding_kernelIN3c108BFloat16ELb1ELb1EEEvPKlPT_S6_PKS5_S8_illiii
	.globl	_ZN4vllm23rotary_embedding_kernelIN3c108BFloat16ELb1ELb1EEEvPKlPT_S6_PKS5_S8_illiii
	.p2align	8
	.type	_ZN4vllm23rotary_embedding_kernelIN3c108BFloat16ELb1ELb1EEEvPKlPT_S6_PKS5_S8_illiii,@function
_ZN4vllm23rotary_embedding_kernelIN3c108BFloat16ELb1ELb1EEEvPKlPT_S6_PKS5_S8_illiii: ; @_ZN4vllm23rotary_embedding_kernelIN3c108BFloat16ELb1ELb1EEEvPKlPT_S6_PKS5_S8_illiii
; %bb.0:
	s_clause 0x1
	s_load_b32 s23, s[0:1], 0x28
	s_load_b64 s[2:3], s[0:1], 0x0
	s_mov_b32 s16, s15
	s_ashr_i32 s17, s15, 31
	s_load_b128 s[12:15], s[0:1], 0x10
	s_lshl_b64 s[4:5], s[16:17], 3
	s_mov_b32 s24, exec_lo
	s_waitcnt lgkmcnt(0)
	s_ashr_i32 s20, s23, 31
	s_add_u32 s2, s2, s4
	s_addc_u32 s3, s3, s5
	s_load_b64 s[2:3], s[2:3], 0x0
	s_clause 0x1
	s_load_b64 s[18:19], s[0:1], 0x20
	s_load_b256 s[4:11], s[0:1], 0x30
	s_waitcnt lgkmcnt(0)
	s_mul_i32 s11, s2, s20
	s_mul_hi_u32 s20, s2, s23
	s_mul_i32 s3, s3, s23
	s_add_i32 s11, s20, s11
	s_mul_i32 s2, s2, s23
	s_add_i32 s11, s11, s3
	s_delay_alu instid0(SALU_CYCLE_1) | instskip(NEXT) | instid1(SALU_CYCLE_1)
	s_lshr_b32 s3, s11, 31
	s_add_u32 s2, s2, s3
	s_addc_u32 s3, s11, 0
	s_and_b32 s2, s2, -2
	s_delay_alu instid0(SALU_CYCLE_1)
	s_add_u32 s11, s14, s2
	s_addc_u32 s20, s15, s3
	s_add_u32 s21, s18, s2
	s_addc_u32 s22, s19, s3
	s_lshr_b32 s2, s23, 31
	s_sub_i32 s18, s10, s23
	s_add_i32 s2, s23, s2
	s_mov_b32 s23, 0
	s_ashr_i32 s14, s2, 1
	s_ashr_i32 s19, s18, 31
	s_mul_i32 s8, s14, s8
	s_delay_alu instid0(SALU_CYCLE_1)
	v_cmpx_gt_i32_e64 s8, v0
	s_cbranch_execz .LBB9_3
; %bb.1:
	s_clause 0x1
	s_load_b64 s[2:3], s[0:1], 0x8
	s_load_b32 s28, s[0:1], 0x5c
	s_lshl_b64 s[26:27], s[18:19], 1
	s_mul_i32 s5, s16, s5
	s_mul_hi_u32 s15, s16, s4
	s_mul_i32 s25, s17, s4
	s_waitcnt lgkmcnt(0)
	s_add_u32 s26, s2, s26
	s_addc_u32 s27, s3, s27
	s_add_i32 s3, s15, s5
	s_mul_i32 s2, s16, s4
	s_add_i32 s3, s3, s25
	s_delay_alu instid0(SALU_CYCLE_1) | instskip(NEXT) | instid1(SALU_CYCLE_1)
	s_lshl_b64 s[2:3], s[2:3], 1
	s_add_u32 s25, s26, s2
	s_addc_u32 s26, s27, s3
	s_abs_i32 s27, s14
	s_ashr_i32 s15, s14, 31
	v_cvt_f32_u32_e32 v1, s27
	s_sub_i32 s2, 0, s27
	s_and_b32 s28, s28, 0xffff
	s_sub_i32 s29, 0, s14
	s_lshl_b64 s[4:5], s[14:15], 1
	v_rcp_iflag_f32_e32 v1, v1
	s_waitcnt_depctr 0xfff
	v_mul_f32_e32 v1, 0x4f7ffffe, v1
	s_delay_alu instid0(VALU_DEP_1) | instskip(NEXT) | instid1(VALU_DEP_1)
	v_cvt_u32_f32_e32 v1, v1
	v_mul_lo_u32 v2, s2, v1
	s_delay_alu instid0(VALU_DEP_1) | instskip(NEXT) | instid1(VALU_DEP_1)
	v_mul_hi_u32 v2, v1, v2
	v_dual_mov_b32 v1, v0 :: v_dual_add_nc_u32 v2, v1, v2
.LBB9_2:                                ; =>This Inner Loop Header: Depth=1
	s_delay_alu instid0(VALU_DEP_1) | instskip(SKIP_1) | instid1(VALU_DEP_2)
	v_sub_nc_u32_e32 v3, 0, v1
	v_ashrrev_i32_e32 v4, 31, v1
	v_max_i32_e32 v3, v1, v3
	s_delay_alu instid0(VALU_DEP_2) | instskip(NEXT) | instid1(VALU_DEP_2)
	v_xor_b32_e32 v4, s15, v4
	v_mul_hi_u32 v5, v3, v2
	s_delay_alu instid0(VALU_DEP_1) | instskip(SKIP_1) | instid1(VALU_DEP_2)
	v_mul_lo_u32 v6, v5, s27
	v_add_nc_u32_e32 v7, 1, v5
	v_sub_nc_u32_e32 v3, v3, v6
	s_delay_alu instid0(VALU_DEP_1) | instskip(SKIP_1) | instid1(VALU_DEP_4)
	v_subrev_nc_u32_e32 v6, s27, v3
	v_cmp_le_u32_e32 vcc_lo, s27, v3
	v_cndmask_b32_e32 v5, v5, v7, vcc_lo
	s_delay_alu instid0(VALU_DEP_1) | instskip(NEXT) | instid1(VALU_DEP_1)
	v_dual_cndmask_b32 v3, v3, v6 :: v_dual_add_nc_u32 v6, 1, v5
	v_cmp_le_u32_e32 vcc_lo, s27, v3
	s_delay_alu instid0(VALU_DEP_2) | instskip(NEXT) | instid1(VALU_DEP_1)
	v_cndmask_b32_e32 v3, v5, v6, vcc_lo
	v_xor_b32_e32 v3, v3, v4
	s_delay_alu instid0(VALU_DEP_1) | instskip(NEXT) | instid1(VALU_DEP_1)
	v_sub_nc_u32_e32 v4, v3, v4
	v_mul_lo_u32 v3, v4, s10
	v_mad_u64_u32 v[5:6], null, s29, v4, v[1:2]
	v_add_nc_u32_e32 v1, s28, v1
	s_delay_alu instid0(VALU_DEP_3) | instskip(NEXT) | instid1(VALU_DEP_3)
	v_ashrrev_i32_e32 v4, 31, v3
	v_ashrrev_i32_e32 v6, 31, v5
	s_delay_alu instid0(VALU_DEP_2) | instskip(NEXT) | instid1(VALU_DEP_2)
	v_lshlrev_b64 v[3:4], 1, v[3:4]
	v_lshlrev_b64 v[5:6], 1, v[5:6]
	s_delay_alu instid0(VALU_DEP_2) | instskip(NEXT) | instid1(VALU_DEP_3)
	v_add_co_u32 v9, vcc_lo, s25, v3
	v_add_co_ci_u32_e32 v10, vcc_lo, s26, v4, vcc_lo
	s_delay_alu instid0(VALU_DEP_3) | instskip(NEXT) | instid1(VALU_DEP_4)
	v_add_co_u32 v3, vcc_lo, s11, v5
	v_add_co_ci_u32_e32 v4, vcc_lo, s20, v6, vcc_lo
	v_add_co_u32 v7, vcc_lo, s21, v5
	v_add_co_ci_u32_e32 v8, vcc_lo, s22, v6, vcc_lo
	;; [unrolled: 2-line block ×3, first 2 shown]
	global_load_u16 v9, v[3:4], off
	global_load_u16 v7, v[7:8], off
	;; [unrolled: 1-line block ×3, first 2 shown]
	v_add_co_u32 v3, vcc_lo, v5, s4
	v_add_co_ci_u32_e32 v4, vcc_lo, s5, v6, vcc_lo
	global_load_u16 v10, v[3:4], off
	s_waitcnt vmcnt(3)
	v_lshrrev_b16 v11, 8, v9
	v_and_b32_e32 v9, 0xff, v9
	s_waitcnt vmcnt(1)
	v_and_b32_e32 v13, 0xff, v8
	v_lshrrev_b16 v12, 8, v7
	v_and_b32_e32 v7, 0xff, v7
	v_lshrrev_b16 v8, 8, v8
	v_lshlrev_b32_e32 v9, 16, v9
	v_lshlrev_b32_e32 v13, 16, v13
	s_delay_alu instid0(VALU_DEP_4)
	v_lshlrev_b32_e32 v7, 16, v7
	s_waitcnt vmcnt(0)
	v_and_b32_e32 v14, 0xff, v10
	v_lshl_or_b32 v9, v11, 24, v9
	v_lshl_or_b32 v8, v8, 24, v13
	v_lshrrev_b16 v10, 8, v10
	v_lshl_or_b32 v7, v12, 24, v7
	s_delay_alu instid0(VALU_DEP_3) | instskip(NEXT) | instid1(VALU_DEP_2)
	v_dual_mul_f32 v12, v9, v8 :: v_dual_lshlrev_b32 v11, 16, v14
	v_mul_f32_e32 v8, v7, v8
	s_delay_alu instid0(VALU_DEP_2) | instskip(NEXT) | instid1(VALU_DEP_3)
	v_lshl_or_b32 v10, v10, 24, v11
	v_bfe_u32 v11, v12, 16, 1
	v_cmp_o_f32_e64 s2, v12, v12
	s_delay_alu instid0(VALU_DEP_4) | instskip(NEXT) | instid1(VALU_DEP_4)
	v_cmp_o_f32_e32 vcc_lo, v8, v8
	v_mul_f32_e32 v7, v7, v10
	v_mul_f32_e32 v9, v9, v10
	v_bfe_u32 v10, v8, 16, 1
	v_add3_u32 v11, v12, v11, 0x7fff
	s_delay_alu instid0(VALU_DEP_3) | instskip(NEXT) | instid1(VALU_DEP_3)
	v_bfe_u32 v14, v9, 16, 1
	v_add3_u32 v10, v8, v10, 0x7fff
	s_delay_alu instid0(VALU_DEP_3) | instskip(NEXT) | instid1(VALU_DEP_3)
	v_lshrrev_b32_e32 v11, 16, v11
	v_add3_u32 v14, v9, v14, 0x7fff
	s_delay_alu instid0(VALU_DEP_3) | instskip(NEXT) | instid1(VALU_DEP_3)
	v_lshrrev_b32_e32 v10, 16, v10
	v_cndmask_b32_e64 v8, 0x7fc0, v11, s2
	v_cmp_o_f32_e64 s2, v9, v9
	s_delay_alu instid0(VALU_DEP_4) | instskip(NEXT) | instid1(VALU_DEP_4)
	v_lshrrev_b32_e32 v12, 16, v14
	v_cndmask_b32_e32 v9, 0x7fc0, v10, vcc_lo
	s_delay_alu instid0(VALU_DEP_4) | instskip(SKIP_3) | instid1(VALU_DEP_4)
	v_and_b32_e32 v10, 0xff, v8
	v_bfe_u32 v13, v7, 16, 1
	v_cmp_o_f32_e32 vcc_lo, v7, v7
	v_lshrrev_b16 v8, 8, v8
	v_lshlrev_b32_e32 v10, 16, v10
	s_delay_alu instid0(VALU_DEP_4) | instskip(NEXT) | instid1(VALU_DEP_2)
	v_add3_u32 v13, v7, v13, 0x7fff
	v_lshl_or_b32 v8, v8, 24, v10
	s_delay_alu instid0(VALU_DEP_2) | instskip(NEXT) | instid1(VALU_DEP_1)
	v_lshrrev_b32_e32 v11, 16, v13
	v_cndmask_b32_e32 v7, 0x7fc0, v11, vcc_lo
	v_cndmask_b32_e64 v11, 0x7fc0, v12, s2
	v_lshrrev_b16 v12, 8, v9
	v_and_b32_e32 v9, 0xff, v9
	v_cmp_le_i32_e32 vcc_lo, s8, v1
	v_and_b32_e32 v13, 0xff, v7
	v_and_b32_e32 v14, 0xff, v11
	v_lshrrev_b16 v7, 8, v7
	v_lshrrev_b16 v11, 8, v11
	v_lshlrev_b32_e32 v9, 16, v9
	v_lshlrev_b32_e32 v13, 16, v13
	s_or_b32 s23, vcc_lo, s23
	s_delay_alu instid0(VALU_DEP_2) | instskip(NEXT) | instid1(VALU_DEP_2)
	v_lshl_or_b32 v9, v12, 24, v9
	v_lshl_or_b32 v7, v7, 24, v13
	s_delay_alu instid0(VALU_DEP_1) | instskip(NEXT) | instid1(VALU_DEP_1)
	v_dual_sub_f32 v7, v8, v7 :: v_dual_lshlrev_b32 v14, 16, v14
	v_lshl_or_b32 v10, v11, 24, v14
	s_delay_alu instid0(VALU_DEP_2) | instskip(NEXT) | instid1(VALU_DEP_2)
	v_cmp_o_f32_e64 s3, v7, v7
	v_add_f32_e32 v8, v9, v10
	v_bfe_u32 v9, v7, 16, 1
	s_delay_alu instid0(VALU_DEP_2) | instskip(NEXT) | instid1(VALU_DEP_2)
	v_bfe_u32 v10, v8, 16, 1
	v_add3_u32 v9, v7, v9, 0x7fff
	v_cmp_o_f32_e64 s2, v8, v8
	s_delay_alu instid0(VALU_DEP_3) | instskip(NEXT) | instid1(VALU_DEP_3)
	v_add3_u32 v10, v8, v10, 0x7fff
	v_lshrrev_b32_e32 v9, 16, v9
	s_delay_alu instid0(VALU_DEP_2) | instskip(NEXT) | instid1(VALU_DEP_2)
	v_lshrrev_b32_e32 v10, 16, v10
	v_cndmask_b32_e64 v7, 0x7fc0, v9, s3
	s_delay_alu instid0(VALU_DEP_2)
	v_cndmask_b32_e64 v8, 0x7fc0, v10, s2
	s_clause 0x1
	global_store_b16 v[5:6], v7, off
	global_store_b16 v[3:4], v8, off
	s_and_not1_b32 exec_lo, exec_lo, s23
	s_cbranch_execnz .LBB9_2
.LBB9_3:
	s_or_b32 exec_lo, exec_lo, s24
	s_mul_i32 s4, s14, s9
	s_mov_b32 s2, exec_lo
	v_cmpx_gt_i32_e64 s4, v0
	s_cbranch_execz .LBB9_6
; %bb.4:
	s_lshl_b64 s[2:3], s[18:19], 1
	s_mul_i32 s5, s16, s7
	s_add_u32 s7, s12, s2
	s_mul_hi_u32 s2, s16, s6
	s_addc_u32 s8, s13, s3
	s_add_i32 s2, s2, s5
	s_mul_i32 s3, s17, s6
	s_load_b32 s0, s[0:1], 0x5c
	s_add_i32 s3, s2, s3
	s_mul_i32 s2, s16, s6
	s_mov_b32 s9, 0
	s_lshl_b64 s[2:3], s[2:3], 1
	s_delay_alu instid0(SALU_CYCLE_1)
	s_add_u32 s5, s7, s2
	s_addc_u32 s6, s8, s3
	s_abs_i32 s7, s14
	s_ashr_i32 s15, s14, 31
	v_cvt_f32_u32_e32 v1, s7
	s_sub_i32 s1, 0, s7
	s_sub_i32 s12, 0, s14
	s_lshl_b64 s[2:3], s[14:15], 1
	s_delay_alu instid0(VALU_DEP_1) | instskip(SKIP_4) | instid1(VALU_DEP_1)
	v_rcp_iflag_f32_e32 v1, v1
	s_waitcnt lgkmcnt(0)
	s_and_b32 s8, s0, 0xffff
	s_waitcnt_depctr 0xfff
	v_mul_f32_e32 v1, 0x4f7ffffe, v1
	v_cvt_u32_f32_e32 v1, v1
	s_delay_alu instid0(VALU_DEP_1) | instskip(NEXT) | instid1(VALU_DEP_1)
	v_mul_lo_u32 v2, s1, v1
	v_mul_hi_u32 v2, v1, v2
	s_delay_alu instid0(VALU_DEP_1)
	v_add_nc_u32_e32 v1, v1, v2
.LBB9_5:                                ; =>This Inner Loop Header: Depth=1
	v_sub_nc_u32_e32 v2, 0, v0
	v_ashrrev_i32_e32 v3, 31, v0
	s_delay_alu instid0(VALU_DEP_2) | instskip(NEXT) | instid1(VALU_DEP_2)
	v_max_i32_e32 v2, v0, v2
	v_xor_b32_e32 v3, s15, v3
	s_delay_alu instid0(VALU_DEP_2) | instskip(NEXT) | instid1(VALU_DEP_1)
	v_mul_hi_u32 v4, v2, v1
	v_mul_lo_u32 v5, v4, s7
	v_add_nc_u32_e32 v6, 1, v4
	s_delay_alu instid0(VALU_DEP_2) | instskip(NEXT) | instid1(VALU_DEP_1)
	v_sub_nc_u32_e32 v2, v2, v5
	v_subrev_nc_u32_e32 v5, s7, v2
	v_cmp_le_u32_e32 vcc_lo, s7, v2
	s_delay_alu instid0(VALU_DEP_4) | instskip(NEXT) | instid1(VALU_DEP_1)
	v_cndmask_b32_e32 v4, v4, v6, vcc_lo
	v_dual_cndmask_b32 v2, v2, v5 :: v_dual_add_nc_u32 v5, 1, v4
	s_delay_alu instid0(VALU_DEP_1) | instskip(NEXT) | instid1(VALU_DEP_2)
	v_cmp_le_u32_e32 vcc_lo, s7, v2
	v_cndmask_b32_e32 v2, v4, v5, vcc_lo
	s_delay_alu instid0(VALU_DEP_1) | instskip(NEXT) | instid1(VALU_DEP_1)
	v_xor_b32_e32 v2, v2, v3
	v_sub_nc_u32_e32 v3, v2, v3
	s_delay_alu instid0(VALU_DEP_1) | instskip(SKIP_2) | instid1(VALU_DEP_3)
	v_mul_lo_u32 v2, v3, s10
	v_mad_u64_u32 v[4:5], null, s12, v3, v[0:1]
	v_add_nc_u32_e32 v0, s8, v0
	v_ashrrev_i32_e32 v3, 31, v2
	s_delay_alu instid0(VALU_DEP_3) | instskip(NEXT) | instid1(VALU_DEP_2)
	v_ashrrev_i32_e32 v5, 31, v4
	v_lshlrev_b64 v[2:3], 1, v[2:3]
	s_delay_alu instid0(VALU_DEP_2) | instskip(NEXT) | instid1(VALU_DEP_2)
	v_lshlrev_b64 v[4:5], 1, v[4:5]
	v_add_co_u32 v8, vcc_lo, s5, v2
	s_delay_alu instid0(VALU_DEP_3) | instskip(NEXT) | instid1(VALU_DEP_3)
	v_add_co_ci_u32_e32 v9, vcc_lo, s6, v3, vcc_lo
	v_add_co_u32 v2, vcc_lo, s11, v4
	s_delay_alu instid0(VALU_DEP_4)
	v_add_co_ci_u32_e32 v3, vcc_lo, s20, v5, vcc_lo
	v_add_co_u32 v6, vcc_lo, s21, v4
	v_add_co_ci_u32_e32 v7, vcc_lo, s22, v5, vcc_lo
	v_add_co_u32 v4, vcc_lo, v8, v4
	v_add_co_ci_u32_e32 v5, vcc_lo, v9, v5, vcc_lo
	global_load_u16 v8, v[2:3], off
	global_load_u16 v6, v[6:7], off
	;; [unrolled: 1-line block ×3, first 2 shown]
	v_add_co_u32 v2, vcc_lo, v4, s2
	v_add_co_ci_u32_e32 v3, vcc_lo, s3, v5, vcc_lo
	global_load_u16 v9, v[2:3], off
	s_waitcnt vmcnt(3)
	v_lshrrev_b16 v10, 8, v8
	v_and_b32_e32 v8, 0xff, v8
	s_waitcnt vmcnt(1)
	v_and_b32_e32 v12, 0xff, v7
	v_lshrrev_b16 v11, 8, v6
	v_and_b32_e32 v6, 0xff, v6
	v_lshrrev_b16 v7, 8, v7
	v_lshlrev_b32_e32 v8, 16, v8
	v_lshlrev_b32_e32 v12, 16, v12
	s_delay_alu instid0(VALU_DEP_4)
	v_lshlrev_b32_e32 v6, 16, v6
	s_waitcnt vmcnt(0)
	v_and_b32_e32 v13, 0xff, v9
	v_lshl_or_b32 v8, v10, 24, v8
	v_lshl_or_b32 v7, v7, 24, v12
	v_lshrrev_b16 v9, 8, v9
	v_lshl_or_b32 v6, v11, 24, v6
	s_delay_alu instid0(VALU_DEP_3) | instskip(NEXT) | instid1(VALU_DEP_2)
	v_dual_mul_f32 v11, v8, v7 :: v_dual_lshlrev_b32 v10, 16, v13
	v_mul_f32_e32 v7, v6, v7
	s_delay_alu instid0(VALU_DEP_2) | instskip(NEXT) | instid1(VALU_DEP_3)
	v_lshl_or_b32 v9, v9, 24, v10
	v_bfe_u32 v10, v11, 16, 1
	v_cmp_o_f32_e64 s0, v11, v11
	s_delay_alu instid0(VALU_DEP_4) | instskip(NEXT) | instid1(VALU_DEP_4)
	v_cmp_o_f32_e32 vcc_lo, v7, v7
	v_mul_f32_e32 v6, v6, v9
	v_mul_f32_e32 v8, v8, v9
	v_bfe_u32 v9, v7, 16, 1
	v_add3_u32 v10, v11, v10, 0x7fff
	s_delay_alu instid0(VALU_DEP_3) | instskip(NEXT) | instid1(VALU_DEP_3)
	v_bfe_u32 v13, v8, 16, 1
	v_add3_u32 v9, v7, v9, 0x7fff
	s_delay_alu instid0(VALU_DEP_3) | instskip(NEXT) | instid1(VALU_DEP_3)
	v_lshrrev_b32_e32 v10, 16, v10
	v_add3_u32 v13, v8, v13, 0x7fff
	s_delay_alu instid0(VALU_DEP_3) | instskip(NEXT) | instid1(VALU_DEP_3)
	v_lshrrev_b32_e32 v9, 16, v9
	v_cndmask_b32_e64 v7, 0x7fc0, v10, s0
	v_cmp_o_f32_e64 s0, v8, v8
	s_delay_alu instid0(VALU_DEP_4) | instskip(NEXT) | instid1(VALU_DEP_4)
	v_lshrrev_b32_e32 v11, 16, v13
	v_cndmask_b32_e32 v8, 0x7fc0, v9, vcc_lo
	s_delay_alu instid0(VALU_DEP_4) | instskip(SKIP_3) | instid1(VALU_DEP_4)
	v_and_b32_e32 v9, 0xff, v7
	v_bfe_u32 v12, v6, 16, 1
	v_cmp_o_f32_e32 vcc_lo, v6, v6
	v_lshrrev_b16 v7, 8, v7
	v_lshlrev_b32_e32 v9, 16, v9
	s_delay_alu instid0(VALU_DEP_4) | instskip(NEXT) | instid1(VALU_DEP_2)
	v_add3_u32 v12, v6, v12, 0x7fff
	v_lshl_or_b32 v7, v7, 24, v9
	s_delay_alu instid0(VALU_DEP_2) | instskip(NEXT) | instid1(VALU_DEP_1)
	v_lshrrev_b32_e32 v10, 16, v12
	v_cndmask_b32_e32 v6, 0x7fc0, v10, vcc_lo
	v_cndmask_b32_e64 v10, 0x7fc0, v11, s0
	v_lshrrev_b16 v11, 8, v8
	v_and_b32_e32 v8, 0xff, v8
	v_cmp_le_i32_e32 vcc_lo, s4, v0
	v_and_b32_e32 v12, 0xff, v6
	v_and_b32_e32 v13, 0xff, v10
	v_lshrrev_b16 v6, 8, v6
	v_lshrrev_b16 v10, 8, v10
	v_lshlrev_b32_e32 v8, 16, v8
	v_lshlrev_b32_e32 v12, 16, v12
	s_or_b32 s9, vcc_lo, s9
	s_delay_alu instid0(VALU_DEP_2) | instskip(NEXT) | instid1(VALU_DEP_2)
	v_lshl_or_b32 v8, v11, 24, v8
	v_lshl_or_b32 v6, v6, 24, v12
	s_delay_alu instid0(VALU_DEP_1) | instskip(NEXT) | instid1(VALU_DEP_1)
	v_dual_sub_f32 v6, v7, v6 :: v_dual_lshlrev_b32 v13, 16, v13
	v_lshl_or_b32 v9, v10, 24, v13
	s_delay_alu instid0(VALU_DEP_2) | instskip(NEXT) | instid1(VALU_DEP_2)
	v_cmp_o_f32_e64 s1, v6, v6
	v_add_f32_e32 v7, v8, v9
	v_bfe_u32 v8, v6, 16, 1
	s_delay_alu instid0(VALU_DEP_2) | instskip(NEXT) | instid1(VALU_DEP_2)
	v_bfe_u32 v9, v7, 16, 1
	v_add3_u32 v8, v6, v8, 0x7fff
	v_cmp_o_f32_e64 s0, v7, v7
	s_delay_alu instid0(VALU_DEP_3) | instskip(NEXT) | instid1(VALU_DEP_3)
	v_add3_u32 v9, v7, v9, 0x7fff
	v_lshrrev_b32_e32 v8, 16, v8
	s_delay_alu instid0(VALU_DEP_2) | instskip(NEXT) | instid1(VALU_DEP_2)
	v_lshrrev_b32_e32 v9, 16, v9
	v_cndmask_b32_e64 v6, 0x7fc0, v8, s1
	s_delay_alu instid0(VALU_DEP_2)
	v_cndmask_b32_e64 v7, 0x7fc0, v9, s0
	s_clause 0x1
	global_store_b16 v[4:5], v6, off
	global_store_b16 v[2:3], v7, off
	s_and_not1_b32 exec_lo, exec_lo, s9
	s_cbranch_execnz .LBB9_5
.LBB9_6:
	s_nop 0
	s_sendmsg sendmsg(MSG_DEALLOC_VGPRS)
	s_endpgm
	.section	.rodata,"a",@progbits
	.p2align	6, 0x0
	.amdhsa_kernel _ZN4vllm23rotary_embedding_kernelIN3c108BFloat16ELb1ELb1EEEvPKlPT_S6_PKS5_S8_illiii
		.amdhsa_group_segment_fixed_size 0
		.amdhsa_private_segment_fixed_size 0
		.amdhsa_kernarg_size 336
		.amdhsa_user_sgpr_count 15
		.amdhsa_user_sgpr_dispatch_ptr 0
		.amdhsa_user_sgpr_queue_ptr 0
		.amdhsa_user_sgpr_kernarg_segment_ptr 1
		.amdhsa_user_sgpr_dispatch_id 0
		.amdhsa_user_sgpr_private_segment_size 0
		.amdhsa_wavefront_size32 1
		.amdhsa_uses_dynamic_stack 0
		.amdhsa_enable_private_segment 0
		.amdhsa_system_sgpr_workgroup_id_x 1
		.amdhsa_system_sgpr_workgroup_id_y 0
		.amdhsa_system_sgpr_workgroup_id_z 0
		.amdhsa_system_sgpr_workgroup_info 0
		.amdhsa_system_vgpr_workitem_id 0
		.amdhsa_next_free_vgpr 15
		.amdhsa_next_free_sgpr 30
		.amdhsa_reserve_vcc 1
		.amdhsa_float_round_mode_32 0
		.amdhsa_float_round_mode_16_64 0
		.amdhsa_float_denorm_mode_32 3
		.amdhsa_float_denorm_mode_16_64 3
		.amdhsa_dx10_clamp 1
		.amdhsa_ieee_mode 1
		.amdhsa_fp16_overflow 0
		.amdhsa_workgroup_processor_mode 1
		.amdhsa_memory_ordered 1
		.amdhsa_forward_progress 0
		.amdhsa_shared_vgpr_count 0
		.amdhsa_exception_fp_ieee_invalid_op 0
		.amdhsa_exception_fp_denorm_src 0
		.amdhsa_exception_fp_ieee_div_zero 0
		.amdhsa_exception_fp_ieee_overflow 0
		.amdhsa_exception_fp_ieee_underflow 0
		.amdhsa_exception_fp_ieee_inexact 0
		.amdhsa_exception_int_div_zero 0
	.end_amdhsa_kernel
	.section	.text._ZN4vllm23rotary_embedding_kernelIN3c108BFloat16ELb1ELb1EEEvPKlPT_S6_PKS5_S8_illiii,"axG",@progbits,_ZN4vllm23rotary_embedding_kernelIN3c108BFloat16ELb1ELb1EEEvPKlPT_S6_PKS5_S8_illiii,comdat
.Lfunc_end9:
	.size	_ZN4vllm23rotary_embedding_kernelIN3c108BFloat16ELb1ELb1EEEvPKlPT_S6_PKS5_S8_illiii, .Lfunc_end9-_ZN4vllm23rotary_embedding_kernelIN3c108BFloat16ELb1ELb1EEEvPKlPT_S6_PKS5_S8_illiii
                                        ; -- End function
	.section	.AMDGPU.csdata,"",@progbits
; Kernel info:
; codeLenInByte = 2292
; NumSgprs: 32
; NumVgprs: 15
; ScratchSize: 0
; MemoryBound: 0
; FloatMode: 240
; IeeeMode: 1
; LDSByteSize: 0 bytes/workgroup (compile time only)
; SGPRBlocks: 3
; VGPRBlocks: 1
; NumSGPRsForWavesPerEU: 32
; NumVGPRsForWavesPerEU: 15
; Occupancy: 16
; WaveLimiterHint : 1
; COMPUTE_PGM_RSRC2:SCRATCH_EN: 0
; COMPUTE_PGM_RSRC2:USER_SGPR: 15
; COMPUTE_PGM_RSRC2:TRAP_HANDLER: 0
; COMPUTE_PGM_RSRC2:TGID_X_EN: 1
; COMPUTE_PGM_RSRC2:TGID_Y_EN: 0
; COMPUTE_PGM_RSRC2:TGID_Z_EN: 0
; COMPUTE_PGM_RSRC2:TIDIG_COMP_CNT: 0
	.section	.text._ZN4vllm23rotary_embedding_kernelIN3c108BFloat16ELb1ELb0EEEvPKlPT_S6_PKS5_S8_illiii,"axG",@progbits,_ZN4vllm23rotary_embedding_kernelIN3c108BFloat16ELb1ELb0EEEvPKlPT_S6_PKS5_S8_illiii,comdat
	.protected	_ZN4vllm23rotary_embedding_kernelIN3c108BFloat16ELb1ELb0EEEvPKlPT_S6_PKS5_S8_illiii ; -- Begin function _ZN4vllm23rotary_embedding_kernelIN3c108BFloat16ELb1ELb0EEEvPKlPT_S6_PKS5_S8_illiii
	.globl	_ZN4vllm23rotary_embedding_kernelIN3c108BFloat16ELb1ELb0EEEvPKlPT_S6_PKS5_S8_illiii
	.p2align	8
	.type	_ZN4vllm23rotary_embedding_kernelIN3c108BFloat16ELb1ELb0EEEvPKlPT_S6_PKS5_S8_illiii,@function
_ZN4vllm23rotary_embedding_kernelIN3c108BFloat16ELb1ELb0EEEvPKlPT_S6_PKS5_S8_illiii: ; @_ZN4vllm23rotary_embedding_kernelIN3c108BFloat16ELb1ELb0EEEvPKlPT_S6_PKS5_S8_illiii
; %bb.0:
	s_clause 0x1
	s_load_b32 s22, s[0:1], 0x28
	s_load_b64 s[2:3], s[0:1], 0x0
	s_mov_b32 s16, s15
	s_ashr_i32 s17, s15, 31
	s_load_b128 s[12:15], s[0:1], 0x10
	s_lshl_b64 s[4:5], s[16:17], 3
	s_waitcnt lgkmcnt(0)
	s_ashr_i32 s18, s22, 31
	s_add_u32 s2, s2, s4
	s_addc_u32 s3, s3, s5
	s_load_b64 s[2:3], s[2:3], 0x0
	s_clause 0x1
	s_load_b64 s[20:21], s[0:1], 0x20
	s_load_b256 s[4:11], s[0:1], 0x30
	s_waitcnt lgkmcnt(0)
	s_mul_i32 s11, s2, s18
	s_mul_hi_u32 s18, s2, s22
	s_mul_i32 s3, s3, s22
	s_add_i32 s11, s18, s11
	s_mul_i32 s2, s2, s22
	s_add_i32 s11, s11, s3
	s_delay_alu instid0(SALU_CYCLE_1) | instskip(NEXT) | instid1(SALU_CYCLE_1)
	s_lshr_b32 s3, s11, 31
	s_add_u32 s2, s2, s3
	s_addc_u32 s3, s11, 0
	s_and_b32 s2, s2, -2
	s_delay_alu instid0(SALU_CYCLE_1)
	s_add_u32 s11, s14, s2
	s_addc_u32 s18, s15, s3
	s_add_u32 s19, s20, s2
	s_addc_u32 s20, s21, s3
	s_lshr_b32 s2, s22, 31
	s_mov_b32 s21, exec_lo
	s_add_i32 s22, s22, s2
	s_delay_alu instid0(SALU_CYCLE_1) | instskip(SKIP_2) | instid1(SALU_CYCLE_1)
	s_ashr_i32 s14, s22, 1
	s_mov_b32 s22, 0
	s_mul_i32 s8, s14, s8
	v_cmpx_gt_i32_e64 s8, v0
	s_cbranch_execz .LBB10_3
; %bb.1:
	s_load_b64 s[2:3], s[0:1], 0x8
	s_mul_i32 s5, s16, s5
	s_mul_hi_u32 s15, s16, s4
	s_mul_i32 s23, s17, s4
	s_add_i32 s5, s15, s5
	s_load_b32 s15, s[0:1], 0x5c
	s_mul_i32 s4, s16, s4
	s_add_i32 s5, s5, s23
	s_delay_alu instid0(SALU_CYCLE_1)
	s_lshl_b64 s[4:5], s[4:5], 1
	s_waitcnt lgkmcnt(0)
	s_add_u32 s23, s2, s4
	s_addc_u32 s24, s3, s5
	s_abs_i32 s25, s14
	s_sub_i32 s27, 0, s14
	v_cvt_f32_u32_e32 v1, s25
	s_sub_i32 s2, 0, s25
	s_and_b32 s26, s15, 0xffff
	s_ashr_i32 s15, s14, 31
	s_delay_alu instid0(VALU_DEP_1) | instskip(SKIP_3) | instid1(VALU_DEP_1)
	v_rcp_iflag_f32_e32 v1, v1
	s_lshl_b64 s[4:5], s[14:15], 1
	s_waitcnt_depctr 0xfff
	v_mul_f32_e32 v1, 0x4f7ffffe, v1
	v_cvt_u32_f32_e32 v1, v1
	s_delay_alu instid0(VALU_DEP_1) | instskip(NEXT) | instid1(VALU_DEP_1)
	v_mul_lo_u32 v2, s2, v1
	v_mul_hi_u32 v2, v1, v2
	s_delay_alu instid0(VALU_DEP_1)
	v_dual_mov_b32 v1, v0 :: v_dual_add_nc_u32 v2, v1, v2
.LBB10_2:                               ; =>This Inner Loop Header: Depth=1
	s_delay_alu instid0(VALU_DEP_1) | instskip(SKIP_1) | instid1(VALU_DEP_2)
	v_sub_nc_u32_e32 v3, 0, v1
	v_ashrrev_i32_e32 v4, 31, v1
	v_max_i32_e32 v3, v1, v3
	s_delay_alu instid0(VALU_DEP_2) | instskip(NEXT) | instid1(VALU_DEP_2)
	v_xor_b32_e32 v4, s15, v4
	v_mul_hi_u32 v5, v3, v2
	s_delay_alu instid0(VALU_DEP_1) | instskip(SKIP_1) | instid1(VALU_DEP_2)
	v_mul_lo_u32 v6, v5, s25
	v_add_nc_u32_e32 v7, 1, v5
	v_sub_nc_u32_e32 v3, v3, v6
	s_delay_alu instid0(VALU_DEP_1) | instskip(SKIP_1) | instid1(VALU_DEP_4)
	v_subrev_nc_u32_e32 v6, s25, v3
	v_cmp_le_u32_e32 vcc_lo, s25, v3
	v_cndmask_b32_e32 v5, v5, v7, vcc_lo
	s_delay_alu instid0(VALU_DEP_1) | instskip(NEXT) | instid1(VALU_DEP_1)
	v_dual_cndmask_b32 v3, v3, v6 :: v_dual_add_nc_u32 v6, 1, v5
	v_cmp_le_u32_e32 vcc_lo, s25, v3
	s_delay_alu instid0(VALU_DEP_2) | instskip(NEXT) | instid1(VALU_DEP_1)
	v_cndmask_b32_e32 v3, v5, v6, vcc_lo
	v_xor_b32_e32 v3, v3, v4
	s_delay_alu instid0(VALU_DEP_1) | instskip(NEXT) | instid1(VALU_DEP_1)
	v_sub_nc_u32_e32 v4, v3, v4
	v_mul_lo_u32 v3, v4, s10
	v_mad_u64_u32 v[5:6], null, s27, v4, v[1:2]
	v_add_nc_u32_e32 v1, s26, v1
	s_delay_alu instid0(VALU_DEP_3) | instskip(NEXT) | instid1(VALU_DEP_3)
	v_ashrrev_i32_e32 v4, 31, v3
	v_ashrrev_i32_e32 v6, 31, v5
	s_delay_alu instid0(VALU_DEP_2) | instskip(NEXT) | instid1(VALU_DEP_2)
	v_lshlrev_b64 v[3:4], 1, v[3:4]
	v_lshlrev_b64 v[5:6], 1, v[5:6]
	s_delay_alu instid0(VALU_DEP_2) | instskip(NEXT) | instid1(VALU_DEP_3)
	v_add_co_u32 v9, vcc_lo, s23, v3
	v_add_co_ci_u32_e32 v10, vcc_lo, s24, v4, vcc_lo
	s_delay_alu instid0(VALU_DEP_3) | instskip(NEXT) | instid1(VALU_DEP_4)
	v_add_co_u32 v3, vcc_lo, s11, v5
	v_add_co_ci_u32_e32 v4, vcc_lo, s18, v6, vcc_lo
	v_add_co_u32 v7, vcc_lo, s19, v5
	v_add_co_ci_u32_e32 v8, vcc_lo, s20, v6, vcc_lo
	;; [unrolled: 2-line block ×3, first 2 shown]
	global_load_u16 v9, v[3:4], off
	global_load_u16 v7, v[7:8], off
	;; [unrolled: 1-line block ×3, first 2 shown]
	v_add_co_u32 v3, vcc_lo, v5, s4
	v_add_co_ci_u32_e32 v4, vcc_lo, s5, v6, vcc_lo
	global_load_u16 v10, v[3:4], off
	s_waitcnt vmcnt(3)
	v_lshrrev_b16 v11, 8, v9
	v_and_b32_e32 v9, 0xff, v9
	s_waitcnt vmcnt(1)
	v_and_b32_e32 v13, 0xff, v8
	v_lshrrev_b16 v12, 8, v7
	v_and_b32_e32 v7, 0xff, v7
	v_lshrrev_b16 v8, 8, v8
	v_lshlrev_b32_e32 v9, 16, v9
	v_lshlrev_b32_e32 v13, 16, v13
	s_delay_alu instid0(VALU_DEP_4)
	v_lshlrev_b32_e32 v7, 16, v7
	s_waitcnt vmcnt(0)
	v_and_b32_e32 v14, 0xff, v10
	v_lshl_or_b32 v9, v11, 24, v9
	v_lshl_or_b32 v8, v8, 24, v13
	v_lshrrev_b16 v10, 8, v10
	v_lshl_or_b32 v7, v12, 24, v7
	s_delay_alu instid0(VALU_DEP_3) | instskip(NEXT) | instid1(VALU_DEP_2)
	v_dual_mul_f32 v12, v9, v8 :: v_dual_lshlrev_b32 v11, 16, v14
	v_mul_f32_e32 v8, v7, v8
	s_delay_alu instid0(VALU_DEP_2) | instskip(NEXT) | instid1(VALU_DEP_3)
	v_lshl_or_b32 v10, v10, 24, v11
	v_bfe_u32 v11, v12, 16, 1
	v_cmp_o_f32_e64 s2, v12, v12
	s_delay_alu instid0(VALU_DEP_4) | instskip(NEXT) | instid1(VALU_DEP_4)
	v_cmp_o_f32_e32 vcc_lo, v8, v8
	v_mul_f32_e32 v7, v7, v10
	v_mul_f32_e32 v9, v9, v10
	v_bfe_u32 v10, v8, 16, 1
	v_add3_u32 v11, v12, v11, 0x7fff
	s_delay_alu instid0(VALU_DEP_3) | instskip(NEXT) | instid1(VALU_DEP_3)
	v_bfe_u32 v14, v9, 16, 1
	v_add3_u32 v10, v8, v10, 0x7fff
	s_delay_alu instid0(VALU_DEP_3) | instskip(NEXT) | instid1(VALU_DEP_3)
	v_lshrrev_b32_e32 v11, 16, v11
	v_add3_u32 v14, v9, v14, 0x7fff
	s_delay_alu instid0(VALU_DEP_3) | instskip(NEXT) | instid1(VALU_DEP_3)
	v_lshrrev_b32_e32 v10, 16, v10
	v_cndmask_b32_e64 v8, 0x7fc0, v11, s2
	v_cmp_o_f32_e64 s2, v9, v9
	s_delay_alu instid0(VALU_DEP_4) | instskip(NEXT) | instid1(VALU_DEP_4)
	v_lshrrev_b32_e32 v12, 16, v14
	v_cndmask_b32_e32 v9, 0x7fc0, v10, vcc_lo
	s_delay_alu instid0(VALU_DEP_4) | instskip(SKIP_3) | instid1(VALU_DEP_4)
	v_and_b32_e32 v10, 0xff, v8
	v_bfe_u32 v13, v7, 16, 1
	v_cmp_o_f32_e32 vcc_lo, v7, v7
	v_lshrrev_b16 v8, 8, v8
	v_lshlrev_b32_e32 v10, 16, v10
	s_delay_alu instid0(VALU_DEP_4) | instskip(NEXT) | instid1(VALU_DEP_2)
	v_add3_u32 v13, v7, v13, 0x7fff
	v_lshl_or_b32 v8, v8, 24, v10
	s_delay_alu instid0(VALU_DEP_2) | instskip(NEXT) | instid1(VALU_DEP_1)
	v_lshrrev_b32_e32 v11, 16, v13
	v_cndmask_b32_e32 v7, 0x7fc0, v11, vcc_lo
	v_cndmask_b32_e64 v11, 0x7fc0, v12, s2
	v_lshrrev_b16 v12, 8, v9
	v_and_b32_e32 v9, 0xff, v9
	v_cmp_le_i32_e32 vcc_lo, s8, v1
	v_and_b32_e32 v13, 0xff, v7
	v_and_b32_e32 v14, 0xff, v11
	v_lshrrev_b16 v7, 8, v7
	v_lshrrev_b16 v11, 8, v11
	v_lshlrev_b32_e32 v9, 16, v9
	v_lshlrev_b32_e32 v13, 16, v13
	s_or_b32 s22, vcc_lo, s22
	s_delay_alu instid0(VALU_DEP_2) | instskip(NEXT) | instid1(VALU_DEP_2)
	v_lshl_or_b32 v9, v12, 24, v9
	v_lshl_or_b32 v7, v7, 24, v13
	s_delay_alu instid0(VALU_DEP_1) | instskip(NEXT) | instid1(VALU_DEP_1)
	v_dual_sub_f32 v7, v8, v7 :: v_dual_lshlrev_b32 v14, 16, v14
	v_lshl_or_b32 v10, v11, 24, v14
	s_delay_alu instid0(VALU_DEP_2) | instskip(NEXT) | instid1(VALU_DEP_2)
	v_cmp_o_f32_e64 s3, v7, v7
	v_add_f32_e32 v8, v9, v10
	v_bfe_u32 v9, v7, 16, 1
	s_delay_alu instid0(VALU_DEP_2) | instskip(NEXT) | instid1(VALU_DEP_2)
	v_bfe_u32 v10, v8, 16, 1
	v_add3_u32 v9, v7, v9, 0x7fff
	v_cmp_o_f32_e64 s2, v8, v8
	s_delay_alu instid0(VALU_DEP_3) | instskip(NEXT) | instid1(VALU_DEP_3)
	v_add3_u32 v10, v8, v10, 0x7fff
	v_lshrrev_b32_e32 v9, 16, v9
	s_delay_alu instid0(VALU_DEP_2) | instskip(NEXT) | instid1(VALU_DEP_2)
	v_lshrrev_b32_e32 v10, 16, v10
	v_cndmask_b32_e64 v7, 0x7fc0, v9, s3
	s_delay_alu instid0(VALU_DEP_2)
	v_cndmask_b32_e64 v8, 0x7fc0, v10, s2
	s_clause 0x1
	global_store_b16 v[5:6], v7, off
	global_store_b16 v[3:4], v8, off
	s_and_not1_b32 exec_lo, exec_lo, s22
	s_cbranch_execnz .LBB10_2
.LBB10_3:
	s_or_b32 exec_lo, exec_lo, s21
	s_mul_i32 s4, s14, s9
	s_mov_b32 s2, exec_lo
	v_cmpx_gt_i32_e64 s4, v0
	s_cbranch_execz .LBB10_6
; %bb.4:
	s_mul_i32 s2, s16, s7
	s_mul_hi_u32 s3, s16, s6
	s_mul_i32 s5, s17, s6
	s_add_i32 s3, s3, s2
	s_mul_i32 s2, s16, s6
	s_add_i32 s3, s3, s5
	s_load_b32 s0, s[0:1], 0x5c
	s_lshl_b64 s[2:3], s[2:3], 1
	s_mov_b32 s9, 0
	s_add_u32 s5, s12, s2
	s_addc_u32 s6, s13, s3
	s_abs_i32 s7, s14
	s_ashr_i32 s15, s14, 31
	v_cvt_f32_u32_e32 v1, s7
	s_sub_i32 s1, 0, s7
	s_sub_i32 s12, 0, s14
	s_lshl_b64 s[2:3], s[14:15], 1
	s_delay_alu instid0(VALU_DEP_1) | instskip(SKIP_4) | instid1(VALU_DEP_1)
	v_rcp_iflag_f32_e32 v1, v1
	s_waitcnt lgkmcnt(0)
	s_and_b32 s8, s0, 0xffff
	s_waitcnt_depctr 0xfff
	v_mul_f32_e32 v1, 0x4f7ffffe, v1
	v_cvt_u32_f32_e32 v1, v1
	s_delay_alu instid0(VALU_DEP_1) | instskip(NEXT) | instid1(VALU_DEP_1)
	v_mul_lo_u32 v2, s1, v1
	v_mul_hi_u32 v2, v1, v2
	s_delay_alu instid0(VALU_DEP_1)
	v_add_nc_u32_e32 v1, v1, v2
.LBB10_5:                               ; =>This Inner Loop Header: Depth=1
	v_sub_nc_u32_e32 v2, 0, v0
	v_ashrrev_i32_e32 v3, 31, v0
	s_delay_alu instid0(VALU_DEP_2) | instskip(NEXT) | instid1(VALU_DEP_2)
	v_max_i32_e32 v2, v0, v2
	v_xor_b32_e32 v3, s15, v3
	s_delay_alu instid0(VALU_DEP_2) | instskip(NEXT) | instid1(VALU_DEP_1)
	v_mul_hi_u32 v4, v2, v1
	v_mul_lo_u32 v5, v4, s7
	v_add_nc_u32_e32 v6, 1, v4
	s_delay_alu instid0(VALU_DEP_2) | instskip(NEXT) | instid1(VALU_DEP_1)
	v_sub_nc_u32_e32 v2, v2, v5
	v_subrev_nc_u32_e32 v5, s7, v2
	v_cmp_le_u32_e32 vcc_lo, s7, v2
	s_delay_alu instid0(VALU_DEP_4) | instskip(NEXT) | instid1(VALU_DEP_1)
	v_cndmask_b32_e32 v4, v4, v6, vcc_lo
	v_dual_cndmask_b32 v2, v2, v5 :: v_dual_add_nc_u32 v5, 1, v4
	s_delay_alu instid0(VALU_DEP_1) | instskip(NEXT) | instid1(VALU_DEP_2)
	v_cmp_le_u32_e32 vcc_lo, s7, v2
	v_cndmask_b32_e32 v2, v4, v5, vcc_lo
	s_delay_alu instid0(VALU_DEP_1) | instskip(NEXT) | instid1(VALU_DEP_1)
	v_xor_b32_e32 v2, v2, v3
	v_sub_nc_u32_e32 v3, v2, v3
	s_delay_alu instid0(VALU_DEP_1) | instskip(SKIP_2) | instid1(VALU_DEP_3)
	v_mul_lo_u32 v2, v3, s10
	v_mad_u64_u32 v[4:5], null, s12, v3, v[0:1]
	v_add_nc_u32_e32 v0, s8, v0
	v_ashrrev_i32_e32 v3, 31, v2
	s_delay_alu instid0(VALU_DEP_3) | instskip(NEXT) | instid1(VALU_DEP_2)
	v_ashrrev_i32_e32 v5, 31, v4
	v_lshlrev_b64 v[2:3], 1, v[2:3]
	s_delay_alu instid0(VALU_DEP_2) | instskip(NEXT) | instid1(VALU_DEP_2)
	v_lshlrev_b64 v[4:5], 1, v[4:5]
	v_add_co_u32 v8, vcc_lo, s5, v2
	s_delay_alu instid0(VALU_DEP_3) | instskip(NEXT) | instid1(VALU_DEP_3)
	v_add_co_ci_u32_e32 v9, vcc_lo, s6, v3, vcc_lo
	v_add_co_u32 v2, vcc_lo, s11, v4
	s_delay_alu instid0(VALU_DEP_4)
	v_add_co_ci_u32_e32 v3, vcc_lo, s18, v5, vcc_lo
	v_add_co_u32 v6, vcc_lo, s19, v4
	v_add_co_ci_u32_e32 v7, vcc_lo, s20, v5, vcc_lo
	v_add_co_u32 v4, vcc_lo, v8, v4
	v_add_co_ci_u32_e32 v5, vcc_lo, v9, v5, vcc_lo
	global_load_u16 v8, v[2:3], off
	global_load_u16 v6, v[6:7], off
	;; [unrolled: 1-line block ×3, first 2 shown]
	v_add_co_u32 v2, vcc_lo, v4, s2
	v_add_co_ci_u32_e32 v3, vcc_lo, s3, v5, vcc_lo
	global_load_u16 v9, v[2:3], off
	s_waitcnt vmcnt(3)
	v_lshrrev_b16 v10, 8, v8
	v_and_b32_e32 v8, 0xff, v8
	s_waitcnt vmcnt(1)
	v_and_b32_e32 v12, 0xff, v7
	v_lshrrev_b16 v11, 8, v6
	v_and_b32_e32 v6, 0xff, v6
	v_lshrrev_b16 v7, 8, v7
	v_lshlrev_b32_e32 v8, 16, v8
	v_lshlrev_b32_e32 v12, 16, v12
	s_delay_alu instid0(VALU_DEP_4)
	v_lshlrev_b32_e32 v6, 16, v6
	s_waitcnt vmcnt(0)
	v_and_b32_e32 v13, 0xff, v9
	v_lshl_or_b32 v8, v10, 24, v8
	v_lshl_or_b32 v7, v7, 24, v12
	v_lshrrev_b16 v9, 8, v9
	v_lshl_or_b32 v6, v11, 24, v6
	s_delay_alu instid0(VALU_DEP_3) | instskip(NEXT) | instid1(VALU_DEP_2)
	v_dual_mul_f32 v11, v8, v7 :: v_dual_lshlrev_b32 v10, 16, v13
	v_mul_f32_e32 v7, v6, v7
	s_delay_alu instid0(VALU_DEP_2) | instskip(NEXT) | instid1(VALU_DEP_3)
	v_lshl_or_b32 v9, v9, 24, v10
	v_bfe_u32 v10, v11, 16, 1
	v_cmp_o_f32_e64 s0, v11, v11
	s_delay_alu instid0(VALU_DEP_4) | instskip(NEXT) | instid1(VALU_DEP_4)
	v_cmp_o_f32_e32 vcc_lo, v7, v7
	v_mul_f32_e32 v6, v6, v9
	v_mul_f32_e32 v8, v8, v9
	v_bfe_u32 v9, v7, 16, 1
	v_add3_u32 v10, v11, v10, 0x7fff
	s_delay_alu instid0(VALU_DEP_3) | instskip(NEXT) | instid1(VALU_DEP_3)
	v_bfe_u32 v13, v8, 16, 1
	v_add3_u32 v9, v7, v9, 0x7fff
	s_delay_alu instid0(VALU_DEP_3) | instskip(NEXT) | instid1(VALU_DEP_3)
	v_lshrrev_b32_e32 v10, 16, v10
	v_add3_u32 v13, v8, v13, 0x7fff
	s_delay_alu instid0(VALU_DEP_3) | instskip(NEXT) | instid1(VALU_DEP_3)
	v_lshrrev_b32_e32 v9, 16, v9
	v_cndmask_b32_e64 v7, 0x7fc0, v10, s0
	v_cmp_o_f32_e64 s0, v8, v8
	s_delay_alu instid0(VALU_DEP_4) | instskip(NEXT) | instid1(VALU_DEP_4)
	v_lshrrev_b32_e32 v11, 16, v13
	v_cndmask_b32_e32 v8, 0x7fc0, v9, vcc_lo
	s_delay_alu instid0(VALU_DEP_4) | instskip(SKIP_3) | instid1(VALU_DEP_4)
	v_and_b32_e32 v9, 0xff, v7
	v_bfe_u32 v12, v6, 16, 1
	v_cmp_o_f32_e32 vcc_lo, v6, v6
	v_lshrrev_b16 v7, 8, v7
	v_lshlrev_b32_e32 v9, 16, v9
	s_delay_alu instid0(VALU_DEP_4) | instskip(NEXT) | instid1(VALU_DEP_2)
	v_add3_u32 v12, v6, v12, 0x7fff
	v_lshl_or_b32 v7, v7, 24, v9
	s_delay_alu instid0(VALU_DEP_2) | instskip(NEXT) | instid1(VALU_DEP_1)
	v_lshrrev_b32_e32 v10, 16, v12
	v_cndmask_b32_e32 v6, 0x7fc0, v10, vcc_lo
	v_cndmask_b32_e64 v10, 0x7fc0, v11, s0
	v_lshrrev_b16 v11, 8, v8
	v_and_b32_e32 v8, 0xff, v8
	v_cmp_le_i32_e32 vcc_lo, s4, v0
	v_and_b32_e32 v12, 0xff, v6
	v_and_b32_e32 v13, 0xff, v10
	v_lshrrev_b16 v6, 8, v6
	v_lshrrev_b16 v10, 8, v10
	v_lshlrev_b32_e32 v8, 16, v8
	v_lshlrev_b32_e32 v12, 16, v12
	s_or_b32 s9, vcc_lo, s9
	s_delay_alu instid0(VALU_DEP_2) | instskip(NEXT) | instid1(VALU_DEP_2)
	v_lshl_or_b32 v8, v11, 24, v8
	v_lshl_or_b32 v6, v6, 24, v12
	s_delay_alu instid0(VALU_DEP_1) | instskip(NEXT) | instid1(VALU_DEP_1)
	v_dual_sub_f32 v6, v7, v6 :: v_dual_lshlrev_b32 v13, 16, v13
	v_lshl_or_b32 v9, v10, 24, v13
	s_delay_alu instid0(VALU_DEP_2) | instskip(NEXT) | instid1(VALU_DEP_2)
	v_cmp_o_f32_e64 s1, v6, v6
	v_add_f32_e32 v7, v8, v9
	v_bfe_u32 v8, v6, 16, 1
	s_delay_alu instid0(VALU_DEP_2) | instskip(NEXT) | instid1(VALU_DEP_2)
	v_bfe_u32 v9, v7, 16, 1
	v_add3_u32 v8, v6, v8, 0x7fff
	v_cmp_o_f32_e64 s0, v7, v7
	s_delay_alu instid0(VALU_DEP_3) | instskip(NEXT) | instid1(VALU_DEP_3)
	v_add3_u32 v9, v7, v9, 0x7fff
	v_lshrrev_b32_e32 v8, 16, v8
	s_delay_alu instid0(VALU_DEP_2) | instskip(NEXT) | instid1(VALU_DEP_2)
	v_lshrrev_b32_e32 v9, 16, v9
	v_cndmask_b32_e64 v6, 0x7fc0, v8, s1
	s_delay_alu instid0(VALU_DEP_2)
	v_cndmask_b32_e64 v7, 0x7fc0, v9, s0
	s_clause 0x1
	global_store_b16 v[4:5], v6, off
	global_store_b16 v[2:3], v7, off
	s_and_not1_b32 exec_lo, exec_lo, s9
	s_cbranch_execnz .LBB10_5
.LBB10_6:
	s_nop 0
	s_sendmsg sendmsg(MSG_DEALLOC_VGPRS)
	s_endpgm
	.section	.rodata,"a",@progbits
	.p2align	6, 0x0
	.amdhsa_kernel _ZN4vllm23rotary_embedding_kernelIN3c108BFloat16ELb1ELb0EEEvPKlPT_S6_PKS5_S8_illiii
		.amdhsa_group_segment_fixed_size 0
		.amdhsa_private_segment_fixed_size 0
		.amdhsa_kernarg_size 336
		.amdhsa_user_sgpr_count 15
		.amdhsa_user_sgpr_dispatch_ptr 0
		.amdhsa_user_sgpr_queue_ptr 0
		.amdhsa_user_sgpr_kernarg_segment_ptr 1
		.amdhsa_user_sgpr_dispatch_id 0
		.amdhsa_user_sgpr_private_segment_size 0
		.amdhsa_wavefront_size32 1
		.amdhsa_uses_dynamic_stack 0
		.amdhsa_enable_private_segment 0
		.amdhsa_system_sgpr_workgroup_id_x 1
		.amdhsa_system_sgpr_workgroup_id_y 0
		.amdhsa_system_sgpr_workgroup_id_z 0
		.amdhsa_system_sgpr_workgroup_info 0
		.amdhsa_system_vgpr_workitem_id 0
		.amdhsa_next_free_vgpr 15
		.amdhsa_next_free_sgpr 28
		.amdhsa_reserve_vcc 1
		.amdhsa_float_round_mode_32 0
		.amdhsa_float_round_mode_16_64 0
		.amdhsa_float_denorm_mode_32 3
		.amdhsa_float_denorm_mode_16_64 3
		.amdhsa_dx10_clamp 1
		.amdhsa_ieee_mode 1
		.amdhsa_fp16_overflow 0
		.amdhsa_workgroup_processor_mode 1
		.amdhsa_memory_ordered 1
		.amdhsa_forward_progress 0
		.amdhsa_shared_vgpr_count 0
		.amdhsa_exception_fp_ieee_invalid_op 0
		.amdhsa_exception_fp_denorm_src 0
		.amdhsa_exception_fp_ieee_div_zero 0
		.amdhsa_exception_fp_ieee_overflow 0
		.amdhsa_exception_fp_ieee_underflow 0
		.amdhsa_exception_fp_ieee_inexact 0
		.amdhsa_exception_int_div_zero 0
	.end_amdhsa_kernel
	.section	.text._ZN4vllm23rotary_embedding_kernelIN3c108BFloat16ELb1ELb0EEEvPKlPT_S6_PKS5_S8_illiii,"axG",@progbits,_ZN4vllm23rotary_embedding_kernelIN3c108BFloat16ELb1ELb0EEEvPKlPT_S6_PKS5_S8_illiii,comdat
.Lfunc_end10:
	.size	_ZN4vllm23rotary_embedding_kernelIN3c108BFloat16ELb1ELb0EEEvPKlPT_S6_PKS5_S8_illiii, .Lfunc_end10-_ZN4vllm23rotary_embedding_kernelIN3c108BFloat16ELb1ELb0EEEvPKlPT_S6_PKS5_S8_illiii
                                        ; -- End function
	.section	.AMDGPU.csdata,"",@progbits
; Kernel info:
; codeLenInByte = 2256
; NumSgprs: 30
; NumVgprs: 15
; ScratchSize: 0
; MemoryBound: 0
; FloatMode: 240
; IeeeMode: 1
; LDSByteSize: 0 bytes/workgroup (compile time only)
; SGPRBlocks: 3
; VGPRBlocks: 1
; NumSGPRsForWavesPerEU: 30
; NumVGPRsForWavesPerEU: 15
; Occupancy: 16
; WaveLimiterHint : 1
; COMPUTE_PGM_RSRC2:SCRATCH_EN: 0
; COMPUTE_PGM_RSRC2:USER_SGPR: 15
; COMPUTE_PGM_RSRC2:TRAP_HANDLER: 0
; COMPUTE_PGM_RSRC2:TGID_X_EN: 1
; COMPUTE_PGM_RSRC2:TGID_Y_EN: 0
; COMPUTE_PGM_RSRC2:TGID_Z_EN: 0
; COMPUTE_PGM_RSRC2:TIDIG_COMP_CNT: 0
	.section	.text._ZN4vllm23rotary_embedding_kernelIN3c108BFloat16ELb0ELb1EEEvPKlPT_S6_PKS5_S8_illiii,"axG",@progbits,_ZN4vllm23rotary_embedding_kernelIN3c108BFloat16ELb0ELb1EEEvPKlPT_S6_PKS5_S8_illiii,comdat
	.protected	_ZN4vllm23rotary_embedding_kernelIN3c108BFloat16ELb0ELb1EEEvPKlPT_S6_PKS5_S8_illiii ; -- Begin function _ZN4vllm23rotary_embedding_kernelIN3c108BFloat16ELb0ELb1EEEvPKlPT_S6_PKS5_S8_illiii
	.globl	_ZN4vllm23rotary_embedding_kernelIN3c108BFloat16ELb0ELb1EEEvPKlPT_S6_PKS5_S8_illiii
	.p2align	8
	.type	_ZN4vllm23rotary_embedding_kernelIN3c108BFloat16ELb0ELb1EEEvPKlPT_S6_PKS5_S8_illiii,@function
_ZN4vllm23rotary_embedding_kernelIN3c108BFloat16ELb0ELb1EEEvPKlPT_S6_PKS5_S8_illiii: ; @_ZN4vllm23rotary_embedding_kernelIN3c108BFloat16ELb0ELb1EEEvPKlPT_S6_PKS5_S8_illiii
; %bb.0:
	s_clause 0x1
	s_load_b32 s21, s[0:1], 0x28
	s_load_b64 s[2:3], s[0:1], 0x0
	s_mov_b32 s16, s15
	s_ashr_i32 s17, s15, 31
	s_load_b128 s[12:15], s[0:1], 0x10
	s_lshl_b64 s[4:5], s[16:17], 3
	v_lshlrev_b32_e32 v1, 1, v0
	s_mov_b32 s22, exec_lo
	s_waitcnt lgkmcnt(0)
	s_ashr_i32 s20, s21, 31
	s_add_u32 s2, s2, s4
	s_addc_u32 s3, s3, s5
	s_load_b64 s[2:3], s[2:3], 0x0
	s_clause 0x1
	s_load_b64 s[18:19], s[0:1], 0x20
	s_load_b256 s[4:11], s[0:1], 0x30
	s_waitcnt lgkmcnt(0)
	s_mul_i32 s11, s2, s20
	s_mul_hi_u32 s20, s2, s21
	s_mul_i32 s3, s3, s21
	s_add_i32 s11, s20, s11
	s_mul_i32 s2, s2, s21
	s_add_i32 s11, s11, s3
	s_delay_alu instid0(SALU_CYCLE_1) | instskip(NEXT) | instid1(SALU_CYCLE_1)
	s_lshr_b32 s3, s11, 31
	s_add_u32 s2, s2, s3
	s_addc_u32 s20, s11, 0
	s_and_b32 s2, s2, -2
	s_delay_alu instid0(SALU_CYCLE_1)
	s_add_u32 s3, s14, s2
	s_addc_u32 s11, s15, s20
	s_add_u32 s18, s18, s2
	s_addc_u32 s19, s19, s20
	s_lshr_b32 s2, s21, 31
	s_sub_i32 s14, s10, s21
	s_add_i32 s2, s21, s2
	s_mov_b32 s21, 0
	s_ashr_i32 s20, s2, 1
	s_ashr_i32 s15, s14, 31
	s_mul_i32 s8, s20, s8
	s_delay_alu instid0(SALU_CYCLE_1)
	v_cmpx_gt_i32_e64 s8, v0
	s_cbranch_execz .LBB11_3
; %bb.1:
	s_clause 0x1
	s_load_b64 s[24:25], s[0:1], 0x8
	s_load_b32 s28, s[0:1], 0x5c
	s_lshl_b64 s[26:27], s[14:15], 1
	s_mul_i32 s2, s16, s5
	s_mul_hi_u32 s5, s16, s4
	s_mul_i32 s23, s17, s4
	s_mul_i32 s4, s16, s4
	s_waitcnt lgkmcnt(0)
	s_add_u32 s24, s24, s26
	s_addc_u32 s25, s25, s27
	s_add_i32 s2, s5, s2
	s_delay_alu instid0(SALU_CYCLE_1) | instskip(NEXT) | instid1(SALU_CYCLE_1)
	s_add_i32 s5, s2, s23
	s_lshl_b64 s[4:5], s[4:5], 1
	s_delay_alu instid0(SALU_CYCLE_1)
	s_add_u32 s4, s24, s4
	s_addc_u32 s5, s25, s5
	s_abs_i32 s23, s20
	s_and_b32 s24, s28, 0xffff
	v_cvt_f32_u32_e32 v2, s23
	s_sub_i32 s2, 0, s23
	s_ashr_i32 s25, s20, 31
	s_lshl_b32 s27, s24, 1
	s_sub_i32 s28, 0, s20
	v_rcp_iflag_f32_e32 v2, v2
	s_waitcnt_depctr 0xfff
	v_mul_f32_e32 v2, 0x4f7ffffe, v2
	s_delay_alu instid0(VALU_DEP_1) | instskip(NEXT) | instid1(VALU_DEP_1)
	v_cvt_u32_f32_e32 v3, v2
	v_mul_lo_u32 v2, s2, v3
	s_lshl_b32 s2, s20, 1
	s_delay_alu instid0(SALU_CYCLE_1) | instskip(NEXT) | instid1(VALU_DEP_1)
	s_sub_i32 s26, 0, s2
	v_mul_hi_u32 v4, v3, v2
	v_lshlrev_b32_e32 v2, 1, v0
	s_delay_alu instid0(VALU_DEP_2)
	v_dual_mov_b32 v3, v0 :: v_dual_add_nc_u32 v4, v3, v4
.LBB11_2:                               ; =>This Inner Loop Header: Depth=1
	s_delay_alu instid0(VALU_DEP_1) | instskip(SKIP_1) | instid1(VALU_DEP_2)
	v_sub_nc_u32_e32 v5, 0, v3
	v_ashrrev_i32_e32 v6, 31, v3
	v_max_i32_e32 v5, v3, v5
	s_delay_alu instid0(VALU_DEP_2) | instskip(NEXT) | instid1(VALU_DEP_2)
	v_xor_b32_e32 v6, s25, v6
	v_mul_hi_u32 v7, v5, v4
	s_delay_alu instid0(VALU_DEP_1) | instskip(SKIP_1) | instid1(VALU_DEP_2)
	v_mul_lo_u32 v8, v7, s23
	v_add_nc_u32_e32 v9, 1, v7
	v_sub_nc_u32_e32 v5, v5, v8
	s_delay_alu instid0(VALU_DEP_1) | instskip(SKIP_1) | instid1(VALU_DEP_4)
	v_subrev_nc_u32_e32 v8, s23, v5
	v_cmp_le_u32_e32 vcc_lo, s23, v5
	v_cndmask_b32_e32 v7, v7, v9, vcc_lo
	s_delay_alu instid0(VALU_DEP_1) | instskip(NEXT) | instid1(VALU_DEP_1)
	v_dual_cndmask_b32 v5, v5, v8 :: v_dual_add_nc_u32 v8, 1, v7
	v_cmp_le_u32_e32 vcc_lo, s23, v5
	s_delay_alu instid0(VALU_DEP_2) | instskip(NEXT) | instid1(VALU_DEP_1)
	v_cndmask_b32_e32 v5, v7, v8, vcc_lo
	v_xor_b32_e32 v5, v5, v6
	s_delay_alu instid0(VALU_DEP_1) | instskip(NEXT) | instid1(VALU_DEP_1)
	v_sub_nc_u32_e32 v6, v5, v6
	v_mul_lo_u32 v5, v6, s10
	v_mad_u64_u32 v[7:8], null, s28, v6, v[3:4]
	v_mad_u64_u32 v[9:10], null, s26, v6, v[2:3]
	v_add_nc_u32_e32 v3, s24, v3
	v_add_nc_u32_e32 v2, s27, v2
	v_ashrrev_i32_e32 v6, 31, v5
	v_ashrrev_i32_e32 v8, 31, v7
	;; [unrolled: 1-line block ×3, first 2 shown]
	s_delay_alu instid0(VALU_DEP_3) | instskip(NEXT) | instid1(VALU_DEP_3)
	v_lshlrev_b64 v[5:6], 1, v[5:6]
	v_lshlrev_b64 v[7:8], 1, v[7:8]
	s_delay_alu instid0(VALU_DEP_3) | instskip(NEXT) | instid1(VALU_DEP_3)
	v_lshlrev_b64 v[9:10], 1, v[9:10]
	v_add_co_u32 v11, vcc_lo, s4, v5
	s_delay_alu instid0(VALU_DEP_4) | instskip(NEXT) | instid1(VALU_DEP_4)
	v_add_co_ci_u32_e32 v12, vcc_lo, s5, v6, vcc_lo
	v_add_co_u32 v5, vcc_lo, s3, v7
	v_add_co_ci_u32_e32 v6, vcc_lo, s11, v8, vcc_lo
	v_add_co_u32 v7, vcc_lo, s18, v7
	;; [unrolled: 2-line block ×3, first 2 shown]
	v_add_co_ci_u32_e32 v10, vcc_lo, v12, v10, vcc_lo
	global_load_u16 v5, v[5:6], off
	global_load_b32 v6, v[9:10], off
	global_load_u16 v7, v[7:8], off
	s_waitcnt vmcnt(2)
	v_lshrrev_b16 v8, 8, v5
	s_waitcnt vmcnt(1)
	v_lshrrev_b32_e32 v13, 16, v6
	s_waitcnt vmcnt(0)
	v_lshrrev_b16 v11, 8, v7
	v_and_b32_e32 v7, 0xff, v7
	v_and_b32_e32 v12, 0xff, v6
	v_lshrrev_b16 v14, 8, v6
	v_and_b32_e32 v13, 0xff, v13
	s_delay_alu instid0(VALU_DEP_4) | instskip(NEXT) | instid1(VALU_DEP_1)
	v_lshlrev_b32_e32 v7, 16, v7
	v_lshl_or_b32 v7, v11, 24, v7
	v_and_b32_e32 v5, 0xff, v5
	s_delay_alu instid0(VALU_DEP_4) | instskip(NEXT) | instid1(VALU_DEP_2)
	v_lshlrev_b32_e32 v11, 16, v13
	v_lshlrev_b32_e32 v5, 16, v5
	s_delay_alu instid0(VALU_DEP_2) | instskip(SKIP_1) | instid1(VALU_DEP_3)
	v_and_or_b32 v6, 0xff000000, v6, v11
	v_lshlrev_b32_e32 v12, 16, v12
	v_lshl_or_b32 v5, v8, 24, v5
	s_delay_alu instid0(VALU_DEP_2) | instskip(NEXT) | instid1(VALU_DEP_1)
	v_lshl_or_b32 v8, v14, 24, v12
	v_mul_f32_e32 v12, v5, v8
	v_mul_f32_e32 v8, v7, v8
	;; [unrolled: 1-line block ×4, first 2 shown]
	s_delay_alu instid0(VALU_DEP_4) | instskip(NEXT) | instid1(VALU_DEP_4)
	v_bfe_u32 v11, v12, 16, 1
	v_bfe_u32 v6, v8, 16, 1
	s_delay_alu instid0(VALU_DEP_4) | instskip(NEXT) | instid1(VALU_DEP_4)
	v_bfe_u32 v13, v7, 16, 1
	v_bfe_u32 v14, v5, 16, 1
	v_cmp_o_f32_e32 vcc_lo, v8, v8
	v_add3_u32 v11, v12, v11, 0x7fff
	v_add3_u32 v6, v8, v6, 0x7fff
	;; [unrolled: 1-line block ×4, first 2 shown]
	v_cmp_o_f32_e64 s2, v12, v12
	v_lshrrev_b32_e32 v11, 16, v11
	v_lshrrev_b32_e32 v6, 16, v6
	s_delay_alu instid0(VALU_DEP_4) | instskip(NEXT) | instid1(VALU_DEP_3)
	v_lshrrev_b32_e32 v12, 16, v14
	v_cndmask_b32_e64 v8, 0x7fc0, v11, s2
	v_lshrrev_b32_e32 v11, 16, v13
	v_cmp_o_f32_e64 s2, v5, v5
	v_cndmask_b32_e32 v5, 0x7fc0, v6, vcc_lo
	v_cmp_o_f32_e32 vcc_lo, v7, v7
	v_and_b32_e32 v7, 0xff, v8
	v_lshrrev_b16 v8, 8, v8
	v_cndmask_b32_e32 v6, 0x7fc0, v11, vcc_lo
	v_cndmask_b32_e64 v11, 0x7fc0, v12, s2
	v_lshrrev_b16 v12, 8, v5
	v_and_b32_e32 v5, 0xff, v5
	v_lshlrev_b32_e32 v7, 16, v7
	v_and_b32_e32 v13, 0xff, v6
	v_and_b32_e32 v14, 0xff, v11
	v_lshrrev_b16 v6, 8, v6
	v_lshlrev_b32_e32 v5, 16, v5
	v_lshrrev_b16 v11, 8, v11
	v_lshlrev_b32_e32 v13, 16, v13
	v_lshl_or_b32 v7, v8, 24, v7
	s_delay_alu instid0(VALU_DEP_4) | instskip(SKIP_1) | instid1(VALU_DEP_4)
	v_lshl_or_b32 v5, v12, 24, v5
	v_lshlrev_b32_e32 v14, 16, v14
	v_lshl_or_b32 v6, v6, 24, v13
	s_delay_alu instid0(VALU_DEP_2) | instskip(NEXT) | instid1(VALU_DEP_1)
	v_lshl_or_b32 v8, v11, 24, v14
	v_dual_sub_f32 v6, v7, v6 :: v_dual_add_f32 v5, v5, v8
	s_delay_alu instid0(VALU_DEP_1) | instskip(SKIP_1) | instid1(VALU_DEP_3)
	v_bfe_u32 v7, v6, 16, 1
	v_cmp_o_f32_e64 s2, v6, v6
	v_bfe_u32 v8, v5, 16, 1
	s_delay_alu instid0(VALU_DEP_3) | instskip(SKIP_1) | instid1(VALU_DEP_3)
	v_add3_u32 v7, v6, v7, 0x7fff
	v_cmp_o_f32_e32 vcc_lo, v5, v5
	v_add3_u32 v8, v5, v8, 0x7fff
	s_delay_alu instid0(VALU_DEP_3) | instskip(NEXT) | instid1(VALU_DEP_2)
	v_lshrrev_b32_e32 v7, 16, v7
	v_lshrrev_b32_e32 v8, 16, v8
	s_delay_alu instid0(VALU_DEP_2) | instskip(NEXT) | instid1(VALU_DEP_2)
	v_cndmask_b32_e64 v5, 0x7fc0, v7, s2
	v_cndmask_b32_e32 v6, 0x7fc0, v8, vcc_lo
	v_cmp_le_i32_e32 vcc_lo, s8, v3
	s_delay_alu instid0(VALU_DEP_2)
	v_perm_b32 v5, v6, v5, 0x5040100
	s_or_b32 s21, vcc_lo, s21
	global_store_b32 v[9:10], v5, off
	s_and_not1_b32 exec_lo, exec_lo, s21
	s_cbranch_execnz .LBB11_2
.LBB11_3:
	s_or_b32 exec_lo, exec_lo, s22
	s_mul_i32 s2, s20, s9
	s_mov_b32 s4, exec_lo
	v_cmpx_gt_i32_e64 s2, v0
	s_cbranch_execz .LBB11_6
; %bb.4:
	s_lshl_b64 s[4:5], s[14:15], 1
	s_mul_i32 s7, s16, s7
	s_add_u32 s8, s12, s4
	s_mul_hi_u32 s4, s16, s6
	s_addc_u32 s9, s13, s5
	s_add_i32 s4, s4, s7
	s_mul_i32 s5, s17, s6
	s_load_b32 s0, s[0:1], 0x5c
	s_add_i32 s5, s4, s5
	s_mul_i32 s4, s16, s6
	s_delay_alu instid0(SALU_CYCLE_1) | instskip(NEXT) | instid1(SALU_CYCLE_1)
	s_lshl_b64 s[4:5], s[4:5], 1
	s_add_u32 s4, s8, s4
	s_addc_u32 s5, s9, s5
	s_abs_i32 s6, s20
	s_ashr_i32 s7, s20, 31
	v_cvt_f32_u32_e32 v2, s6
	s_sub_i32 s1, 0, s6
	s_mov_b32 s8, 0
	s_sub_i32 s13, 0, s20
	s_delay_alu instid0(VALU_DEP_1) | instskip(SKIP_2) | instid1(VALU_DEP_1)
	v_rcp_iflag_f32_e32 v2, v2
	s_waitcnt_depctr 0xfff
	v_mul_f32_e32 v2, 0x4f7ffffe, v2
	v_cvt_u32_f32_e32 v2, v2
	s_delay_alu instid0(VALU_DEP_1)
	v_mul_lo_u32 v3, s1, v2
	s_waitcnt lgkmcnt(0)
	s_and_b32 s1, s0, 0xffff
	s_lshl_b32 s0, s20, 1
	s_lshl_b32 s12, s1, 1
	s_sub_i32 s9, 0, s0
	s_delay_alu instid0(VALU_DEP_1) | instskip(NEXT) | instid1(VALU_DEP_1)
	v_mul_hi_u32 v3, v2, v3
	v_add_nc_u32_e32 v2, v2, v3
.LBB11_5:                               ; =>This Inner Loop Header: Depth=1
	v_sub_nc_u32_e32 v3, 0, v0
	v_ashrrev_i32_e32 v4, 31, v0
	s_delay_alu instid0(VALU_DEP_2) | instskip(NEXT) | instid1(VALU_DEP_2)
	v_max_i32_e32 v3, v0, v3
	v_xor_b32_e32 v4, s7, v4
	s_delay_alu instid0(VALU_DEP_2) | instskip(NEXT) | instid1(VALU_DEP_1)
	v_mul_hi_u32 v5, v3, v2
	v_mul_lo_u32 v6, v5, s6
	v_add_nc_u32_e32 v7, 1, v5
	s_delay_alu instid0(VALU_DEP_2) | instskip(NEXT) | instid1(VALU_DEP_1)
	v_sub_nc_u32_e32 v3, v3, v6
	v_subrev_nc_u32_e32 v6, s6, v3
	v_cmp_le_u32_e32 vcc_lo, s6, v3
	s_delay_alu instid0(VALU_DEP_4) | instskip(NEXT) | instid1(VALU_DEP_1)
	v_cndmask_b32_e32 v5, v5, v7, vcc_lo
	v_dual_cndmask_b32 v3, v3, v6 :: v_dual_add_nc_u32 v6, 1, v5
	s_delay_alu instid0(VALU_DEP_1) | instskip(NEXT) | instid1(VALU_DEP_2)
	v_cmp_le_u32_e32 vcc_lo, s6, v3
	v_cndmask_b32_e32 v3, v5, v6, vcc_lo
	s_delay_alu instid0(VALU_DEP_1) | instskip(NEXT) | instid1(VALU_DEP_1)
	v_xor_b32_e32 v3, v3, v4
	v_sub_nc_u32_e32 v4, v3, v4
	s_delay_alu instid0(VALU_DEP_1)
	v_mul_lo_u32 v3, v4, s10
	v_mad_u64_u32 v[5:6], null, s13, v4, v[0:1]
	v_mad_u64_u32 v[7:8], null, s9, v4, v[1:2]
	v_add_nc_u32_e32 v0, s1, v0
	v_add_nc_u32_e32 v1, s12, v1
	v_ashrrev_i32_e32 v4, 31, v3
	v_ashrrev_i32_e32 v6, 31, v5
	;; [unrolled: 1-line block ×3, first 2 shown]
	s_delay_alu instid0(VALU_DEP_3) | instskip(NEXT) | instid1(VALU_DEP_3)
	v_lshlrev_b64 v[3:4], 1, v[3:4]
	v_lshlrev_b64 v[5:6], 1, v[5:6]
	s_delay_alu instid0(VALU_DEP_3) | instskip(NEXT) | instid1(VALU_DEP_3)
	v_lshlrev_b64 v[7:8], 1, v[7:8]
	v_add_co_u32 v9, vcc_lo, s4, v3
	s_delay_alu instid0(VALU_DEP_4) | instskip(NEXT) | instid1(VALU_DEP_4)
	v_add_co_ci_u32_e32 v10, vcc_lo, s5, v4, vcc_lo
	v_add_co_u32 v3, vcc_lo, s3, v5
	v_add_co_ci_u32_e32 v4, vcc_lo, s11, v6, vcc_lo
	v_add_co_u32 v5, vcc_lo, s18, v5
	;; [unrolled: 2-line block ×3, first 2 shown]
	v_add_co_ci_u32_e32 v8, vcc_lo, v10, v8, vcc_lo
	global_load_u16 v3, v[3:4], off
	global_load_b32 v4, v[7:8], off
	global_load_u16 v5, v[5:6], off
	s_waitcnt vmcnt(2)
	v_lshrrev_b16 v6, 8, v3
	s_waitcnt vmcnt(1)
	v_lshrrev_b32_e32 v11, 16, v4
	s_waitcnt vmcnt(0)
	v_lshrrev_b16 v9, 8, v5
	v_and_b32_e32 v5, 0xff, v5
	v_and_b32_e32 v10, 0xff, v4
	v_lshrrev_b16 v12, 8, v4
	v_and_b32_e32 v11, 0xff, v11
	s_delay_alu instid0(VALU_DEP_4) | instskip(NEXT) | instid1(VALU_DEP_1)
	v_lshlrev_b32_e32 v5, 16, v5
	v_lshl_or_b32 v5, v9, 24, v5
	v_and_b32_e32 v3, 0xff, v3
	s_delay_alu instid0(VALU_DEP_4) | instskip(NEXT) | instid1(VALU_DEP_2)
	v_lshlrev_b32_e32 v9, 16, v11
	v_lshlrev_b32_e32 v3, 16, v3
	s_delay_alu instid0(VALU_DEP_2) | instskip(SKIP_1) | instid1(VALU_DEP_3)
	v_and_or_b32 v4, 0xff000000, v4, v9
	v_lshlrev_b32_e32 v10, 16, v10
	v_lshl_or_b32 v3, v6, 24, v3
	s_delay_alu instid0(VALU_DEP_2) | instskip(NEXT) | instid1(VALU_DEP_1)
	v_lshl_or_b32 v6, v12, 24, v10
	v_mul_f32_e32 v10, v3, v6
	v_mul_f32_e32 v6, v5, v6
	;; [unrolled: 1-line block ×4, first 2 shown]
	s_delay_alu instid0(VALU_DEP_4) | instskip(NEXT) | instid1(VALU_DEP_4)
	v_bfe_u32 v9, v10, 16, 1
	v_bfe_u32 v4, v6, 16, 1
	s_delay_alu instid0(VALU_DEP_4) | instskip(NEXT) | instid1(VALU_DEP_4)
	v_bfe_u32 v11, v5, 16, 1
	v_bfe_u32 v12, v3, 16, 1
	v_cmp_o_f32_e32 vcc_lo, v6, v6
	v_add3_u32 v9, v10, v9, 0x7fff
	v_add3_u32 v4, v6, v4, 0x7fff
	v_add3_u32 v11, v5, v11, 0x7fff
	v_add3_u32 v12, v3, v12, 0x7fff
	v_cmp_o_f32_e64 s0, v10, v10
	v_lshrrev_b32_e32 v9, 16, v9
	v_lshrrev_b32_e32 v4, 16, v4
	s_delay_alu instid0(VALU_DEP_4) | instskip(NEXT) | instid1(VALU_DEP_3)
	v_lshrrev_b32_e32 v10, 16, v12
	v_cndmask_b32_e64 v6, 0x7fc0, v9, s0
	v_lshrrev_b32_e32 v9, 16, v11
	v_cmp_o_f32_e64 s0, v3, v3
	v_cndmask_b32_e32 v3, 0x7fc0, v4, vcc_lo
	v_cmp_o_f32_e32 vcc_lo, v5, v5
	v_and_b32_e32 v5, 0xff, v6
	v_lshrrev_b16 v6, 8, v6
	v_cndmask_b32_e32 v4, 0x7fc0, v9, vcc_lo
	v_cndmask_b32_e64 v9, 0x7fc0, v10, s0
	v_lshrrev_b16 v10, 8, v3
	v_and_b32_e32 v3, 0xff, v3
	v_lshlrev_b32_e32 v5, 16, v5
	v_and_b32_e32 v11, 0xff, v4
	v_and_b32_e32 v12, 0xff, v9
	v_lshrrev_b16 v4, 8, v4
	v_lshlrev_b32_e32 v3, 16, v3
	v_lshrrev_b16 v9, 8, v9
	v_lshlrev_b32_e32 v11, 16, v11
	v_lshl_or_b32 v5, v6, 24, v5
	s_delay_alu instid0(VALU_DEP_4) | instskip(SKIP_1) | instid1(VALU_DEP_4)
	v_lshl_or_b32 v3, v10, 24, v3
	v_lshlrev_b32_e32 v12, 16, v12
	v_lshl_or_b32 v4, v4, 24, v11
	s_delay_alu instid0(VALU_DEP_2) | instskip(NEXT) | instid1(VALU_DEP_1)
	v_lshl_or_b32 v6, v9, 24, v12
	v_dual_sub_f32 v4, v5, v4 :: v_dual_add_f32 v3, v3, v6
	s_delay_alu instid0(VALU_DEP_1) | instskip(SKIP_1) | instid1(VALU_DEP_3)
	v_bfe_u32 v5, v4, 16, 1
	v_cmp_o_f32_e64 s0, v4, v4
	v_bfe_u32 v6, v3, 16, 1
	s_delay_alu instid0(VALU_DEP_3) | instskip(SKIP_1) | instid1(VALU_DEP_3)
	v_add3_u32 v5, v4, v5, 0x7fff
	v_cmp_o_f32_e32 vcc_lo, v3, v3
	v_add3_u32 v6, v3, v6, 0x7fff
	s_delay_alu instid0(VALU_DEP_3) | instskip(NEXT) | instid1(VALU_DEP_2)
	v_lshrrev_b32_e32 v5, 16, v5
	v_lshrrev_b32_e32 v6, 16, v6
	s_delay_alu instid0(VALU_DEP_2) | instskip(NEXT) | instid1(VALU_DEP_2)
	v_cndmask_b32_e64 v3, 0x7fc0, v5, s0
	v_cndmask_b32_e32 v4, 0x7fc0, v6, vcc_lo
	v_cmp_le_i32_e32 vcc_lo, s2, v0
	s_delay_alu instid0(VALU_DEP_2)
	v_perm_b32 v3, v4, v3, 0x5040100
	s_or_b32 s8, vcc_lo, s8
	global_store_b32 v[7:8], v3, off
	s_and_not1_b32 exec_lo, exec_lo, s8
	s_cbranch_execnz .LBB11_5
.LBB11_6:
	s_nop 0
	s_sendmsg sendmsg(MSG_DEALLOC_VGPRS)
	s_endpgm
	.section	.rodata,"a",@progbits
	.p2align	6, 0x0
	.amdhsa_kernel _ZN4vllm23rotary_embedding_kernelIN3c108BFloat16ELb0ELb1EEEvPKlPT_S6_PKS5_S8_illiii
		.amdhsa_group_segment_fixed_size 0
		.amdhsa_private_segment_fixed_size 0
		.amdhsa_kernarg_size 336
		.amdhsa_user_sgpr_count 15
		.amdhsa_user_sgpr_dispatch_ptr 0
		.amdhsa_user_sgpr_queue_ptr 0
		.amdhsa_user_sgpr_kernarg_segment_ptr 1
		.amdhsa_user_sgpr_dispatch_id 0
		.amdhsa_user_sgpr_private_segment_size 0
		.amdhsa_wavefront_size32 1
		.amdhsa_uses_dynamic_stack 0
		.amdhsa_enable_private_segment 0
		.amdhsa_system_sgpr_workgroup_id_x 1
		.amdhsa_system_sgpr_workgroup_id_y 0
		.amdhsa_system_sgpr_workgroup_id_z 0
		.amdhsa_system_sgpr_workgroup_info 0
		.amdhsa_system_vgpr_workitem_id 0
		.amdhsa_next_free_vgpr 15
		.amdhsa_next_free_sgpr 29
		.amdhsa_reserve_vcc 1
		.amdhsa_float_round_mode_32 0
		.amdhsa_float_round_mode_16_64 0
		.amdhsa_float_denorm_mode_32 3
		.amdhsa_float_denorm_mode_16_64 3
		.amdhsa_dx10_clamp 1
		.amdhsa_ieee_mode 1
		.amdhsa_fp16_overflow 0
		.amdhsa_workgroup_processor_mode 1
		.amdhsa_memory_ordered 1
		.amdhsa_forward_progress 0
		.amdhsa_shared_vgpr_count 0
		.amdhsa_exception_fp_ieee_invalid_op 0
		.amdhsa_exception_fp_denorm_src 0
		.amdhsa_exception_fp_ieee_div_zero 0
		.amdhsa_exception_fp_ieee_overflow 0
		.amdhsa_exception_fp_ieee_underflow 0
		.amdhsa_exception_fp_ieee_inexact 0
		.amdhsa_exception_int_div_zero 0
	.end_amdhsa_kernel
	.section	.text._ZN4vllm23rotary_embedding_kernelIN3c108BFloat16ELb0ELb1EEEvPKlPT_S6_PKS5_S8_illiii,"axG",@progbits,_ZN4vllm23rotary_embedding_kernelIN3c108BFloat16ELb0ELb1EEEvPKlPT_S6_PKS5_S8_illiii,comdat
.Lfunc_end11:
	.size	_ZN4vllm23rotary_embedding_kernelIN3c108BFloat16ELb0ELb1EEEvPKlPT_S6_PKS5_S8_illiii, .Lfunc_end11-_ZN4vllm23rotary_embedding_kernelIN3c108BFloat16ELb0ELb1EEEvPKlPT_S6_PKS5_S8_illiii
                                        ; -- End function
	.section	.AMDGPU.csdata,"",@progbits
; Kernel info:
; codeLenInByte = 2276
; NumSgprs: 31
; NumVgprs: 15
; ScratchSize: 0
; MemoryBound: 0
; FloatMode: 240
; IeeeMode: 1
; LDSByteSize: 0 bytes/workgroup (compile time only)
; SGPRBlocks: 3
; VGPRBlocks: 1
; NumSGPRsForWavesPerEU: 31
; NumVGPRsForWavesPerEU: 15
; Occupancy: 16
; WaveLimiterHint : 1
; COMPUTE_PGM_RSRC2:SCRATCH_EN: 0
; COMPUTE_PGM_RSRC2:USER_SGPR: 15
; COMPUTE_PGM_RSRC2:TRAP_HANDLER: 0
; COMPUTE_PGM_RSRC2:TGID_X_EN: 1
; COMPUTE_PGM_RSRC2:TGID_Y_EN: 0
; COMPUTE_PGM_RSRC2:TGID_Z_EN: 0
; COMPUTE_PGM_RSRC2:TIDIG_COMP_CNT: 0
	.section	.text._ZN4vllm23rotary_embedding_kernelIN3c108BFloat16ELb0ELb0EEEvPKlPT_S6_PKS5_S8_illiii,"axG",@progbits,_ZN4vllm23rotary_embedding_kernelIN3c108BFloat16ELb0ELb0EEEvPKlPT_S6_PKS5_S8_illiii,comdat
	.protected	_ZN4vllm23rotary_embedding_kernelIN3c108BFloat16ELb0ELb0EEEvPKlPT_S6_PKS5_S8_illiii ; -- Begin function _ZN4vllm23rotary_embedding_kernelIN3c108BFloat16ELb0ELb0EEEvPKlPT_S6_PKS5_S8_illiii
	.globl	_ZN4vllm23rotary_embedding_kernelIN3c108BFloat16ELb0ELb0EEEvPKlPT_S6_PKS5_S8_illiii
	.p2align	8
	.type	_ZN4vllm23rotary_embedding_kernelIN3c108BFloat16ELb0ELb0EEEvPKlPT_S6_PKS5_S8_illiii,@function
_ZN4vllm23rotary_embedding_kernelIN3c108BFloat16ELb0ELb0EEEvPKlPT_S6_PKS5_S8_illiii: ; @_ZN4vllm23rotary_embedding_kernelIN3c108BFloat16ELb0ELb0EEEvPKlPT_S6_PKS5_S8_illiii
; %bb.0:
	s_clause 0x1
	s_load_b32 s20, s[0:1], 0x28
	s_load_b64 s[2:3], s[0:1], 0x0
	s_mov_b32 s16, s15
	s_ashr_i32 s17, s15, 31
	s_load_b128 s[12:15], s[0:1], 0x10
	s_lshl_b64 s[4:5], s[16:17], 3
	v_lshlrev_b32_e32 v1, 1, v0
	s_waitcnt lgkmcnt(0)
	s_ashr_i32 s21, s20, 31
	s_add_u32 s2, s2, s4
	s_addc_u32 s3, s3, s5
	s_load_b64 s[2:3], s[2:3], 0x0
	s_clause 0x1
	s_load_b64 s[18:19], s[0:1], 0x20
	s_load_b256 s[4:11], s[0:1], 0x30
	s_waitcnt lgkmcnt(0)
	s_mul_i32 s11, s2, s21
	s_mul_hi_u32 s21, s2, s20
	s_mul_i32 s3, s3, s20
	s_add_i32 s11, s21, s11
	s_mul_i32 s2, s2, s20
	s_add_i32 s11, s11, s3
	s_delay_alu instid0(SALU_CYCLE_1) | instskip(NEXT) | instid1(SALU_CYCLE_1)
	s_lshr_b32 s3, s11, 31
	s_add_u32 s2, s2, s3
	s_addc_u32 s21, s11, 0
	s_and_b32 s2, s2, -2
	s_delay_alu instid0(SALU_CYCLE_1)
	s_add_u32 s3, s14, s2
	s_addc_u32 s11, s15, s21
	s_add_u32 s14, s18, s2
	s_addc_u32 s15, s19, s21
	s_lshr_b32 s2, s20, 31
	s_mov_b32 s19, exec_lo
	s_add_i32 s20, s20, s2
	s_delay_alu instid0(SALU_CYCLE_1) | instskip(SKIP_2) | instid1(SALU_CYCLE_1)
	s_ashr_i32 s18, s20, 1
	s_mov_b32 s20, 0
	s_mul_i32 s8, s18, s8
	v_cmpx_gt_i32_e64 s8, v0
	s_cbranch_execz .LBB12_3
; %bb.1:
	s_load_b64 s[22:23], s[0:1], 0x8
	s_mul_i32 s2, s16, s5
	s_mul_hi_u32 s5, s16, s4
	s_mul_i32 s21, s17, s4
	s_add_i32 s2, s5, s2
	s_mul_i32 s4, s16, s4
	s_add_i32 s5, s2, s21
	s_load_b32 s2, s[0:1], 0x5c
	s_lshl_b64 s[4:5], s[4:5], 1
	s_waitcnt lgkmcnt(0)
	s_add_u32 s4, s22, s4
	s_addc_u32 s5, s23, s5
	s_abs_i32 s21, s18
	s_ashr_i32 s23, s18, 31
	v_cvt_f32_u32_e32 v2, s21
	s_sub_i32 s22, 0, s21
	s_sub_i32 s26, 0, s18
	s_delay_alu instid0(VALU_DEP_1) | instskip(SKIP_2) | instid1(VALU_DEP_1)
	v_rcp_iflag_f32_e32 v2, v2
	s_waitcnt_depctr 0xfff
	v_mul_f32_e32 v2, 0x4f7ffffe, v2
	v_cvt_u32_f32_e32 v3, v2
	s_delay_alu instid0(VALU_DEP_1) | instskip(SKIP_4) | instid1(VALU_DEP_1)
	v_mul_lo_u32 v2, s22, v3
	s_and_b32 s22, s2, 0xffff
	s_lshl_b32 s2, s18, 1
	s_lshl_b32 s25, s22, 1
	s_sub_i32 s24, 0, s2
	v_mul_hi_u32 v4, v3, v2
	v_lshlrev_b32_e32 v2, 1, v0
	s_delay_alu instid0(VALU_DEP_2)
	v_dual_mov_b32 v3, v0 :: v_dual_add_nc_u32 v4, v3, v4
.LBB12_2:                               ; =>This Inner Loop Header: Depth=1
	s_delay_alu instid0(VALU_DEP_1) | instskip(SKIP_1) | instid1(VALU_DEP_2)
	v_sub_nc_u32_e32 v5, 0, v3
	v_ashrrev_i32_e32 v6, 31, v3
	v_max_i32_e32 v5, v3, v5
	s_delay_alu instid0(VALU_DEP_2) | instskip(NEXT) | instid1(VALU_DEP_2)
	v_xor_b32_e32 v6, s23, v6
	v_mul_hi_u32 v7, v5, v4
	s_delay_alu instid0(VALU_DEP_1) | instskip(SKIP_1) | instid1(VALU_DEP_2)
	v_mul_lo_u32 v8, v7, s21
	v_add_nc_u32_e32 v9, 1, v7
	v_sub_nc_u32_e32 v5, v5, v8
	s_delay_alu instid0(VALU_DEP_1) | instskip(SKIP_1) | instid1(VALU_DEP_4)
	v_subrev_nc_u32_e32 v8, s21, v5
	v_cmp_le_u32_e32 vcc_lo, s21, v5
	v_cndmask_b32_e32 v7, v7, v9, vcc_lo
	s_delay_alu instid0(VALU_DEP_1) | instskip(NEXT) | instid1(VALU_DEP_1)
	v_dual_cndmask_b32 v5, v5, v8 :: v_dual_add_nc_u32 v8, 1, v7
	v_cmp_le_u32_e32 vcc_lo, s21, v5
	s_delay_alu instid0(VALU_DEP_2) | instskip(NEXT) | instid1(VALU_DEP_1)
	v_cndmask_b32_e32 v5, v7, v8, vcc_lo
	v_xor_b32_e32 v5, v5, v6
	s_delay_alu instid0(VALU_DEP_1) | instskip(NEXT) | instid1(VALU_DEP_1)
	v_sub_nc_u32_e32 v6, v5, v6
	v_mul_lo_u32 v5, v6, s10
	v_mad_u64_u32 v[7:8], null, s26, v6, v[3:4]
	v_mad_u64_u32 v[9:10], null, s24, v6, v[2:3]
	v_add_nc_u32_e32 v3, s22, v3
	v_add_nc_u32_e32 v2, s25, v2
	v_ashrrev_i32_e32 v6, 31, v5
	v_ashrrev_i32_e32 v8, 31, v7
	v_ashrrev_i32_e32 v10, 31, v9
	s_delay_alu instid0(VALU_DEP_3) | instskip(NEXT) | instid1(VALU_DEP_3)
	v_lshlrev_b64 v[5:6], 1, v[5:6]
	v_lshlrev_b64 v[7:8], 1, v[7:8]
	s_delay_alu instid0(VALU_DEP_3) | instskip(NEXT) | instid1(VALU_DEP_3)
	v_lshlrev_b64 v[9:10], 1, v[9:10]
	v_add_co_u32 v11, vcc_lo, s4, v5
	s_delay_alu instid0(VALU_DEP_4) | instskip(NEXT) | instid1(VALU_DEP_4)
	v_add_co_ci_u32_e32 v12, vcc_lo, s5, v6, vcc_lo
	v_add_co_u32 v5, vcc_lo, s3, v7
	v_add_co_ci_u32_e32 v6, vcc_lo, s11, v8, vcc_lo
	v_add_co_u32 v7, vcc_lo, s14, v7
	;; [unrolled: 2-line block ×3, first 2 shown]
	v_add_co_ci_u32_e32 v10, vcc_lo, v12, v10, vcc_lo
	global_load_u16 v5, v[5:6], off
	global_load_b32 v6, v[9:10], off
	global_load_u16 v7, v[7:8], off
	s_waitcnt vmcnt(2)
	v_lshrrev_b16 v8, 8, v5
	s_waitcnt vmcnt(1)
	v_lshrrev_b32_e32 v13, 16, v6
	s_waitcnt vmcnt(0)
	v_lshrrev_b16 v11, 8, v7
	v_and_b32_e32 v7, 0xff, v7
	v_and_b32_e32 v12, 0xff, v6
	v_lshrrev_b16 v14, 8, v6
	v_and_b32_e32 v13, 0xff, v13
	s_delay_alu instid0(VALU_DEP_4) | instskip(NEXT) | instid1(VALU_DEP_1)
	v_lshlrev_b32_e32 v7, 16, v7
	v_lshl_or_b32 v7, v11, 24, v7
	v_and_b32_e32 v5, 0xff, v5
	s_delay_alu instid0(VALU_DEP_4) | instskip(NEXT) | instid1(VALU_DEP_2)
	v_lshlrev_b32_e32 v11, 16, v13
	v_lshlrev_b32_e32 v5, 16, v5
	s_delay_alu instid0(VALU_DEP_2) | instskip(SKIP_1) | instid1(VALU_DEP_3)
	v_and_or_b32 v6, 0xff000000, v6, v11
	v_lshlrev_b32_e32 v12, 16, v12
	v_lshl_or_b32 v5, v8, 24, v5
	s_delay_alu instid0(VALU_DEP_2) | instskip(NEXT) | instid1(VALU_DEP_1)
	v_lshl_or_b32 v8, v14, 24, v12
	v_mul_f32_e32 v12, v5, v8
	v_mul_f32_e32 v8, v7, v8
	;; [unrolled: 1-line block ×4, first 2 shown]
	s_delay_alu instid0(VALU_DEP_4) | instskip(NEXT) | instid1(VALU_DEP_4)
	v_bfe_u32 v11, v12, 16, 1
	v_bfe_u32 v6, v8, 16, 1
	s_delay_alu instid0(VALU_DEP_4) | instskip(NEXT) | instid1(VALU_DEP_4)
	v_bfe_u32 v13, v7, 16, 1
	v_bfe_u32 v14, v5, 16, 1
	v_cmp_o_f32_e32 vcc_lo, v8, v8
	v_add3_u32 v11, v12, v11, 0x7fff
	v_add3_u32 v6, v8, v6, 0x7fff
	;; [unrolled: 1-line block ×4, first 2 shown]
	v_cmp_o_f32_e64 s2, v12, v12
	v_lshrrev_b32_e32 v11, 16, v11
	v_lshrrev_b32_e32 v6, 16, v6
	s_delay_alu instid0(VALU_DEP_4) | instskip(NEXT) | instid1(VALU_DEP_3)
	v_lshrrev_b32_e32 v12, 16, v14
	v_cndmask_b32_e64 v8, 0x7fc0, v11, s2
	v_lshrrev_b32_e32 v11, 16, v13
	v_cmp_o_f32_e64 s2, v5, v5
	v_cndmask_b32_e32 v5, 0x7fc0, v6, vcc_lo
	v_cmp_o_f32_e32 vcc_lo, v7, v7
	v_and_b32_e32 v7, 0xff, v8
	v_lshrrev_b16 v8, 8, v8
	v_cndmask_b32_e32 v6, 0x7fc0, v11, vcc_lo
	v_cndmask_b32_e64 v11, 0x7fc0, v12, s2
	v_lshrrev_b16 v12, 8, v5
	v_and_b32_e32 v5, 0xff, v5
	v_lshlrev_b32_e32 v7, 16, v7
	v_and_b32_e32 v13, 0xff, v6
	v_and_b32_e32 v14, 0xff, v11
	v_lshrrev_b16 v6, 8, v6
	v_lshlrev_b32_e32 v5, 16, v5
	v_lshrrev_b16 v11, 8, v11
	v_lshlrev_b32_e32 v13, 16, v13
	v_lshl_or_b32 v7, v8, 24, v7
	s_delay_alu instid0(VALU_DEP_4) | instskip(SKIP_1) | instid1(VALU_DEP_4)
	v_lshl_or_b32 v5, v12, 24, v5
	v_lshlrev_b32_e32 v14, 16, v14
	v_lshl_or_b32 v6, v6, 24, v13
	s_delay_alu instid0(VALU_DEP_2) | instskip(NEXT) | instid1(VALU_DEP_1)
	v_lshl_or_b32 v8, v11, 24, v14
	v_dual_sub_f32 v6, v7, v6 :: v_dual_add_f32 v5, v5, v8
	s_delay_alu instid0(VALU_DEP_1) | instskip(SKIP_1) | instid1(VALU_DEP_3)
	v_bfe_u32 v7, v6, 16, 1
	v_cmp_o_f32_e64 s2, v6, v6
	v_bfe_u32 v8, v5, 16, 1
	s_delay_alu instid0(VALU_DEP_3) | instskip(SKIP_1) | instid1(VALU_DEP_3)
	v_add3_u32 v7, v6, v7, 0x7fff
	v_cmp_o_f32_e32 vcc_lo, v5, v5
	v_add3_u32 v8, v5, v8, 0x7fff
	s_delay_alu instid0(VALU_DEP_3) | instskip(NEXT) | instid1(VALU_DEP_2)
	v_lshrrev_b32_e32 v7, 16, v7
	v_lshrrev_b32_e32 v8, 16, v8
	s_delay_alu instid0(VALU_DEP_2) | instskip(NEXT) | instid1(VALU_DEP_2)
	v_cndmask_b32_e64 v5, 0x7fc0, v7, s2
	v_cndmask_b32_e32 v6, 0x7fc0, v8, vcc_lo
	v_cmp_le_i32_e32 vcc_lo, s8, v3
	s_delay_alu instid0(VALU_DEP_2)
	v_perm_b32 v5, v6, v5, 0x5040100
	s_or_b32 s20, vcc_lo, s20
	global_store_b32 v[9:10], v5, off
	s_and_not1_b32 exec_lo, exec_lo, s20
	s_cbranch_execnz .LBB12_2
.LBB12_3:
	s_or_b32 exec_lo, exec_lo, s19
	s_mul_i32 s2, s18, s9
	s_mov_b32 s4, exec_lo
	v_cmpx_gt_i32_e64 s2, v0
	s_cbranch_execz .LBB12_6
; %bb.4:
	s_mul_i32 s4, s16, s7
	s_mul_hi_u32 s5, s16, s6
	s_mul_i32 s7, s17, s6
	s_add_i32 s5, s5, s4
	s_mul_i32 s4, s16, s6
	s_add_i32 s5, s5, s7
	s_load_b32 s0, s[0:1], 0x5c
	s_lshl_b64 s[4:5], s[4:5], 1
	s_mov_b32 s8, 0
	s_add_u32 s4, s12, s4
	s_addc_u32 s5, s13, s5
	s_abs_i32 s6, s18
	s_ashr_i32 s7, s18, 31
	v_cvt_f32_u32_e32 v2, s6
	s_sub_i32 s1, 0, s6
	s_sub_i32 s13, 0, s18
	s_delay_alu instid0(VALU_DEP_1) | instskip(SKIP_2) | instid1(VALU_DEP_1)
	v_rcp_iflag_f32_e32 v2, v2
	s_waitcnt_depctr 0xfff
	v_mul_f32_e32 v2, 0x4f7ffffe, v2
	v_cvt_u32_f32_e32 v2, v2
	s_delay_alu instid0(VALU_DEP_1)
	v_mul_lo_u32 v3, s1, v2
	s_waitcnt lgkmcnt(0)
	s_and_b32 s1, s0, 0xffff
	s_lshl_b32 s0, s18, 1
	s_lshl_b32 s12, s1, 1
	s_sub_i32 s9, 0, s0
	s_delay_alu instid0(VALU_DEP_1) | instskip(NEXT) | instid1(VALU_DEP_1)
	v_mul_hi_u32 v3, v2, v3
	v_add_nc_u32_e32 v2, v2, v3
.LBB12_5:                               ; =>This Inner Loop Header: Depth=1
	v_sub_nc_u32_e32 v3, 0, v0
	v_ashrrev_i32_e32 v4, 31, v0
	s_delay_alu instid0(VALU_DEP_2) | instskip(NEXT) | instid1(VALU_DEP_2)
	v_max_i32_e32 v3, v0, v3
	v_xor_b32_e32 v4, s7, v4
	s_delay_alu instid0(VALU_DEP_2) | instskip(NEXT) | instid1(VALU_DEP_1)
	v_mul_hi_u32 v5, v3, v2
	v_mul_lo_u32 v6, v5, s6
	v_add_nc_u32_e32 v7, 1, v5
	s_delay_alu instid0(VALU_DEP_2) | instskip(NEXT) | instid1(VALU_DEP_1)
	v_sub_nc_u32_e32 v3, v3, v6
	v_subrev_nc_u32_e32 v6, s6, v3
	v_cmp_le_u32_e32 vcc_lo, s6, v3
	s_delay_alu instid0(VALU_DEP_4) | instskip(NEXT) | instid1(VALU_DEP_1)
	v_cndmask_b32_e32 v5, v5, v7, vcc_lo
	v_dual_cndmask_b32 v3, v3, v6 :: v_dual_add_nc_u32 v6, 1, v5
	s_delay_alu instid0(VALU_DEP_1) | instskip(NEXT) | instid1(VALU_DEP_2)
	v_cmp_le_u32_e32 vcc_lo, s6, v3
	v_cndmask_b32_e32 v3, v5, v6, vcc_lo
	s_delay_alu instid0(VALU_DEP_1) | instskip(NEXT) | instid1(VALU_DEP_1)
	v_xor_b32_e32 v3, v3, v4
	v_sub_nc_u32_e32 v4, v3, v4
	s_delay_alu instid0(VALU_DEP_1)
	v_mul_lo_u32 v3, v4, s10
	v_mad_u64_u32 v[5:6], null, s13, v4, v[0:1]
	v_mad_u64_u32 v[7:8], null, s9, v4, v[1:2]
	v_add_nc_u32_e32 v0, s1, v0
	v_add_nc_u32_e32 v1, s12, v1
	v_ashrrev_i32_e32 v4, 31, v3
	v_ashrrev_i32_e32 v6, 31, v5
	v_ashrrev_i32_e32 v8, 31, v7
	s_delay_alu instid0(VALU_DEP_3) | instskip(NEXT) | instid1(VALU_DEP_3)
	v_lshlrev_b64 v[3:4], 1, v[3:4]
	v_lshlrev_b64 v[5:6], 1, v[5:6]
	s_delay_alu instid0(VALU_DEP_3) | instskip(NEXT) | instid1(VALU_DEP_3)
	v_lshlrev_b64 v[7:8], 1, v[7:8]
	v_add_co_u32 v9, vcc_lo, s4, v3
	s_delay_alu instid0(VALU_DEP_4) | instskip(NEXT) | instid1(VALU_DEP_4)
	v_add_co_ci_u32_e32 v10, vcc_lo, s5, v4, vcc_lo
	v_add_co_u32 v3, vcc_lo, s3, v5
	v_add_co_ci_u32_e32 v4, vcc_lo, s11, v6, vcc_lo
	v_add_co_u32 v5, vcc_lo, s14, v5
	;; [unrolled: 2-line block ×3, first 2 shown]
	v_add_co_ci_u32_e32 v8, vcc_lo, v10, v8, vcc_lo
	global_load_u16 v3, v[3:4], off
	global_load_b32 v4, v[7:8], off
	global_load_u16 v5, v[5:6], off
	s_waitcnt vmcnt(2)
	v_lshrrev_b16 v6, 8, v3
	s_waitcnt vmcnt(1)
	v_lshrrev_b32_e32 v11, 16, v4
	s_waitcnt vmcnt(0)
	v_lshrrev_b16 v9, 8, v5
	v_and_b32_e32 v5, 0xff, v5
	v_and_b32_e32 v10, 0xff, v4
	v_lshrrev_b16 v12, 8, v4
	v_and_b32_e32 v11, 0xff, v11
	s_delay_alu instid0(VALU_DEP_4) | instskip(NEXT) | instid1(VALU_DEP_1)
	v_lshlrev_b32_e32 v5, 16, v5
	v_lshl_or_b32 v5, v9, 24, v5
	v_and_b32_e32 v3, 0xff, v3
	s_delay_alu instid0(VALU_DEP_4) | instskip(NEXT) | instid1(VALU_DEP_2)
	v_lshlrev_b32_e32 v9, 16, v11
	v_lshlrev_b32_e32 v3, 16, v3
	s_delay_alu instid0(VALU_DEP_2) | instskip(SKIP_1) | instid1(VALU_DEP_3)
	v_and_or_b32 v4, 0xff000000, v4, v9
	v_lshlrev_b32_e32 v10, 16, v10
	v_lshl_or_b32 v3, v6, 24, v3
	s_delay_alu instid0(VALU_DEP_2) | instskip(NEXT) | instid1(VALU_DEP_1)
	v_lshl_or_b32 v6, v12, 24, v10
	v_mul_f32_e32 v10, v3, v6
	v_mul_f32_e32 v6, v5, v6
	;; [unrolled: 1-line block ×4, first 2 shown]
	s_delay_alu instid0(VALU_DEP_4) | instskip(NEXT) | instid1(VALU_DEP_4)
	v_bfe_u32 v9, v10, 16, 1
	v_bfe_u32 v4, v6, 16, 1
	s_delay_alu instid0(VALU_DEP_4) | instskip(NEXT) | instid1(VALU_DEP_4)
	v_bfe_u32 v11, v5, 16, 1
	v_bfe_u32 v12, v3, 16, 1
	v_cmp_o_f32_e32 vcc_lo, v6, v6
	v_add3_u32 v9, v10, v9, 0x7fff
	v_add3_u32 v4, v6, v4, 0x7fff
	;; [unrolled: 1-line block ×4, first 2 shown]
	v_cmp_o_f32_e64 s0, v10, v10
	v_lshrrev_b32_e32 v9, 16, v9
	v_lshrrev_b32_e32 v4, 16, v4
	s_delay_alu instid0(VALU_DEP_4) | instskip(NEXT) | instid1(VALU_DEP_3)
	v_lshrrev_b32_e32 v10, 16, v12
	v_cndmask_b32_e64 v6, 0x7fc0, v9, s0
	v_lshrrev_b32_e32 v9, 16, v11
	v_cmp_o_f32_e64 s0, v3, v3
	v_cndmask_b32_e32 v3, 0x7fc0, v4, vcc_lo
	v_cmp_o_f32_e32 vcc_lo, v5, v5
	v_and_b32_e32 v5, 0xff, v6
	v_lshrrev_b16 v6, 8, v6
	v_cndmask_b32_e32 v4, 0x7fc0, v9, vcc_lo
	v_cndmask_b32_e64 v9, 0x7fc0, v10, s0
	v_lshrrev_b16 v10, 8, v3
	v_and_b32_e32 v3, 0xff, v3
	v_lshlrev_b32_e32 v5, 16, v5
	v_and_b32_e32 v11, 0xff, v4
	v_and_b32_e32 v12, 0xff, v9
	v_lshrrev_b16 v4, 8, v4
	v_lshlrev_b32_e32 v3, 16, v3
	v_lshrrev_b16 v9, 8, v9
	v_lshlrev_b32_e32 v11, 16, v11
	v_lshl_or_b32 v5, v6, 24, v5
	s_delay_alu instid0(VALU_DEP_4) | instskip(SKIP_1) | instid1(VALU_DEP_4)
	v_lshl_or_b32 v3, v10, 24, v3
	v_lshlrev_b32_e32 v12, 16, v12
	v_lshl_or_b32 v4, v4, 24, v11
	s_delay_alu instid0(VALU_DEP_2) | instskip(NEXT) | instid1(VALU_DEP_1)
	v_lshl_or_b32 v6, v9, 24, v12
	v_dual_sub_f32 v4, v5, v4 :: v_dual_add_f32 v3, v3, v6
	s_delay_alu instid0(VALU_DEP_1) | instskip(SKIP_1) | instid1(VALU_DEP_3)
	v_bfe_u32 v5, v4, 16, 1
	v_cmp_o_f32_e64 s0, v4, v4
	v_bfe_u32 v6, v3, 16, 1
	s_delay_alu instid0(VALU_DEP_3) | instskip(SKIP_1) | instid1(VALU_DEP_3)
	v_add3_u32 v5, v4, v5, 0x7fff
	v_cmp_o_f32_e32 vcc_lo, v3, v3
	v_add3_u32 v6, v3, v6, 0x7fff
	s_delay_alu instid0(VALU_DEP_3) | instskip(NEXT) | instid1(VALU_DEP_2)
	v_lshrrev_b32_e32 v5, 16, v5
	v_lshrrev_b32_e32 v6, 16, v6
	s_delay_alu instid0(VALU_DEP_2) | instskip(NEXT) | instid1(VALU_DEP_2)
	v_cndmask_b32_e64 v3, 0x7fc0, v5, s0
	v_cndmask_b32_e32 v4, 0x7fc0, v6, vcc_lo
	v_cmp_le_i32_e32 vcc_lo, s2, v0
	s_delay_alu instid0(VALU_DEP_2)
	v_perm_b32 v3, v4, v3, 0x5040100
	s_or_b32 s8, vcc_lo, s8
	global_store_b32 v[7:8], v3, off
	s_and_not1_b32 exec_lo, exec_lo, s8
	s_cbranch_execnz .LBB12_5
.LBB12_6:
	s_nop 0
	s_sendmsg sendmsg(MSG_DEALLOC_VGPRS)
	s_endpgm
	.section	.rodata,"a",@progbits
	.p2align	6, 0x0
	.amdhsa_kernel _ZN4vllm23rotary_embedding_kernelIN3c108BFloat16ELb0ELb0EEEvPKlPT_S6_PKS5_S8_illiii
		.amdhsa_group_segment_fixed_size 0
		.amdhsa_private_segment_fixed_size 0
		.amdhsa_kernarg_size 336
		.amdhsa_user_sgpr_count 15
		.amdhsa_user_sgpr_dispatch_ptr 0
		.amdhsa_user_sgpr_queue_ptr 0
		.amdhsa_user_sgpr_kernarg_segment_ptr 1
		.amdhsa_user_sgpr_dispatch_id 0
		.amdhsa_user_sgpr_private_segment_size 0
		.amdhsa_wavefront_size32 1
		.amdhsa_uses_dynamic_stack 0
		.amdhsa_enable_private_segment 0
		.amdhsa_system_sgpr_workgroup_id_x 1
		.amdhsa_system_sgpr_workgroup_id_y 0
		.amdhsa_system_sgpr_workgroup_id_z 0
		.amdhsa_system_sgpr_workgroup_info 0
		.amdhsa_system_vgpr_workitem_id 0
		.amdhsa_next_free_vgpr 15
		.amdhsa_next_free_sgpr 27
		.amdhsa_reserve_vcc 1
		.amdhsa_float_round_mode_32 0
		.amdhsa_float_round_mode_16_64 0
		.amdhsa_float_denorm_mode_32 3
		.amdhsa_float_denorm_mode_16_64 3
		.amdhsa_dx10_clamp 1
		.amdhsa_ieee_mode 1
		.amdhsa_fp16_overflow 0
		.amdhsa_workgroup_processor_mode 1
		.amdhsa_memory_ordered 1
		.amdhsa_forward_progress 0
		.amdhsa_shared_vgpr_count 0
		.amdhsa_exception_fp_ieee_invalid_op 0
		.amdhsa_exception_fp_denorm_src 0
		.amdhsa_exception_fp_ieee_div_zero 0
		.amdhsa_exception_fp_ieee_overflow 0
		.amdhsa_exception_fp_ieee_underflow 0
		.amdhsa_exception_fp_ieee_inexact 0
		.amdhsa_exception_int_div_zero 0
	.end_amdhsa_kernel
	.section	.text._ZN4vllm23rotary_embedding_kernelIN3c108BFloat16ELb0ELb0EEEvPKlPT_S6_PKS5_S8_illiii,"axG",@progbits,_ZN4vllm23rotary_embedding_kernelIN3c108BFloat16ELb0ELb0EEEvPKlPT_S6_PKS5_S8_illiii,comdat
.Lfunc_end12:
	.size	_ZN4vllm23rotary_embedding_kernelIN3c108BFloat16ELb0ELb0EEEvPKlPT_S6_PKS5_S8_illiii, .Lfunc_end12-_ZN4vllm23rotary_embedding_kernelIN3c108BFloat16ELb0ELb0EEEvPKlPT_S6_PKS5_S8_illiii
                                        ; -- End function
	.section	.AMDGPU.csdata,"",@progbits
; Kernel info:
; codeLenInByte = 2228
; NumSgprs: 29
; NumVgprs: 15
; ScratchSize: 0
; MemoryBound: 0
; FloatMode: 240
; IeeeMode: 1
; LDSByteSize: 0 bytes/workgroup (compile time only)
; SGPRBlocks: 3
; VGPRBlocks: 1
; NumSGPRsForWavesPerEU: 29
; NumVGPRsForWavesPerEU: 15
; Occupancy: 16
; WaveLimiterHint : 1
; COMPUTE_PGM_RSRC2:SCRATCH_EN: 0
; COMPUTE_PGM_RSRC2:USER_SGPR: 15
; COMPUTE_PGM_RSRC2:TRAP_HANDLER: 0
; COMPUTE_PGM_RSRC2:TGID_X_EN: 1
; COMPUTE_PGM_RSRC2:TGID_Y_EN: 0
; COMPUTE_PGM_RSRC2:TGID_Z_EN: 0
; COMPUTE_PGM_RSRC2:TIDIG_COMP_CNT: 0
	.section	.text._ZN4vllm31batched_rotary_embedding_kernelIfLb1ELb1EEEvPKlPT_S4_PKS3_S6_S2_illiii,"axG",@progbits,_ZN4vllm31batched_rotary_embedding_kernelIfLb1ELb1EEEvPKlPT_S4_PKS3_S6_S2_illiii,comdat
	.protected	_ZN4vllm31batched_rotary_embedding_kernelIfLb1ELb1EEEvPKlPT_S4_PKS3_S6_S2_illiii ; -- Begin function _ZN4vllm31batched_rotary_embedding_kernelIfLb1ELb1EEEvPKlPT_S4_PKS3_S6_S2_illiii
	.globl	_ZN4vllm31batched_rotary_embedding_kernelIfLb1ELb1EEEvPKlPT_S4_PKS3_S6_S2_illiii
	.p2align	8
	.type	_ZN4vllm31batched_rotary_embedding_kernelIfLb1ELb1EEEvPKlPT_S4_PKS3_S6_S2_illiii,@function
_ZN4vllm31batched_rotary_embedding_kernelIfLb1ELb1EEEvPKlPT_S4_PKS3_S6_S2_illiii: ; @_ZN4vllm31batched_rotary_embedding_kernelIfLb1ELb1EEEvPKlPT_S4_PKS3_S6_S2_illiii
; %bb.0:
	s_mov_b32 s20, s15
	s_clause 0x2
	s_load_b32 s22, s[0:1], 0x30
	s_load_b64 s[2:3], s[0:1], 0x0
	s_load_b256 s[12:19], s[0:1], 0x10
	s_ashr_i32 s21, s20, 31
	s_delay_alu instid0(SALU_CYCLE_1)
	s_lshl_b64 s[4:5], s[20:21], 3
	s_waitcnt lgkmcnt(0)
	s_ashr_i32 s6, s22, 31
	s_add_u32 s2, s2, s4
	s_addc_u32 s3, s3, s5
	s_add_u32 s4, s18, s4
	s_addc_u32 s5, s19, s5
	s_load_b64 s[2:3], s[2:3], 0x0
	s_load_b64 s[4:5], s[4:5], 0x0
	s_mov_b32 s19, 0
	s_waitcnt lgkmcnt(0)
	s_add_u32 s2, s4, s2
	s_addc_u32 s3, s5, s3
	s_mul_i32 s4, s2, s6
	s_mul_hi_u32 s5, s2, s22
	s_mul_i32 s3, s3, s22
	s_add_i32 s18, s5, s4
	s_load_b256 s[4:11], s[0:1], 0x38
	s_add_i32 s18, s18, s3
	s_mul_i32 s2, s2, s22
	s_lshr_b32 s3, s18, 31
	s_delay_alu instid0(SALU_CYCLE_1) | instskip(SKIP_1) | instid1(SALU_CYCLE_1)
	s_add_u32 s2, s2, s3
	s_addc_u32 s3, s18, 0
	s_lshl_b64 s[2:3], s[2:3], 1
	s_delay_alu instid0(SALU_CYCLE_1)
	s_and_b32 s2, s2, -4
	s_waitcnt lgkmcnt(0)
	s_add_u32 s11, s14, s2
	s_addc_u32 s18, s15, s3
	s_add_u32 s16, s16, s2
	s_addc_u32 s17, s17, s3
	s_lshr_b32 s2, s22, 31
	s_delay_alu instid0(SALU_CYCLE_1) | instskip(NEXT) | instid1(SALU_CYCLE_1)
	s_add_i32 s2, s22, s2
	s_ashr_i32 s2, s2, 1
	s_sub_i32 s14, s10, s22
	s_mul_i32 s8, s2, s8
	s_ashr_i32 s15, s14, 31
	s_mov_b32 s22, exec_lo
	v_cmpx_gt_i32_e64 s8, v0
	s_cbranch_execz .LBB13_3
; %bb.1:
	s_clause 0x1
	s_load_b64 s[24:25], s[0:1], 0x8
	s_load_b32 s28, s[0:1], 0x64
	s_lshl_b64 s[26:27], s[14:15], 2
	s_mul_i32 s3, s20, s5
	s_mul_hi_u32 s5, s20, s4
	s_mul_i32 s23, s21, s4
	s_mul_i32 s4, s20, s4
	s_waitcnt lgkmcnt(0)
	s_add_u32 s24, s24, s26
	s_addc_u32 s25, s25, s27
	s_add_i32 s3, s5, s3
	s_delay_alu instid0(SALU_CYCLE_1) | instskip(NEXT) | instid1(SALU_CYCLE_1)
	s_add_i32 s5, s3, s23
	s_lshl_b64 s[4:5], s[4:5], 2
	s_delay_alu instid0(SALU_CYCLE_1)
	s_add_u32 s23, s24, s4
	s_addc_u32 s24, s25, s5
	s_abs_i32 s25, s2
	s_and_b32 s26, s28, 0xffff
	v_cvt_f32_u32_e32 v1, s25
	s_sub_i32 s3, 0, s25
	s_sub_i32 s27, 0, s2
	s_delay_alu instid0(VALU_DEP_1) | instskip(SKIP_2) | instid1(VALU_DEP_1)
	v_rcp_iflag_f32_e32 v1, v1
	s_waitcnt_depctr 0xfff
	v_mul_f32_e32 v1, 0x4f7ffffe, v1
	v_cvt_u32_f32_e32 v1, v1
	s_delay_alu instid0(VALU_DEP_1) | instskip(SKIP_1) | instid1(SALU_CYCLE_1)
	v_mul_lo_u32 v2, s3, v1
	s_ashr_i32 s3, s2, 31
	s_lshl_b64 s[4:5], s[2:3], 2
	s_delay_alu instid0(VALU_DEP_1) | instskip(NEXT) | instid1(VALU_DEP_1)
	v_mul_hi_u32 v2, v1, v2
	v_dual_mov_b32 v1, v0 :: v_dual_add_nc_u32 v2, v1, v2
.LBB13_2:                               ; =>This Inner Loop Header: Depth=1
	s_delay_alu instid0(VALU_DEP_1) | instskip(SKIP_1) | instid1(VALU_DEP_2)
	v_sub_nc_u32_e32 v3, 0, v1
	v_ashrrev_i32_e32 v4, 31, v1
	v_max_i32_e32 v3, v1, v3
	s_delay_alu instid0(VALU_DEP_2) | instskip(NEXT) | instid1(VALU_DEP_2)
	v_xor_b32_e32 v4, s3, v4
	v_mul_hi_u32 v5, v3, v2
	s_delay_alu instid0(VALU_DEP_1) | instskip(SKIP_1) | instid1(VALU_DEP_2)
	v_mul_lo_u32 v6, v5, s25
	v_add_nc_u32_e32 v7, 1, v5
	v_sub_nc_u32_e32 v3, v3, v6
	s_delay_alu instid0(VALU_DEP_1) | instskip(SKIP_1) | instid1(VALU_DEP_4)
	v_subrev_nc_u32_e32 v6, s25, v3
	v_cmp_le_u32_e32 vcc_lo, s25, v3
	v_cndmask_b32_e32 v5, v5, v7, vcc_lo
	s_delay_alu instid0(VALU_DEP_1) | instskip(NEXT) | instid1(VALU_DEP_1)
	v_dual_cndmask_b32 v3, v3, v6 :: v_dual_add_nc_u32 v6, 1, v5
	v_cmp_le_u32_e32 vcc_lo, s25, v3
	s_delay_alu instid0(VALU_DEP_2) | instskip(NEXT) | instid1(VALU_DEP_1)
	v_cndmask_b32_e32 v3, v5, v6, vcc_lo
	v_xor_b32_e32 v3, v3, v4
	s_delay_alu instid0(VALU_DEP_1) | instskip(NEXT) | instid1(VALU_DEP_1)
	v_sub_nc_u32_e32 v4, v3, v4
	v_mul_lo_u32 v3, v4, s10
	v_mad_u64_u32 v[5:6], null, s27, v4, v[1:2]
	v_add_nc_u32_e32 v1, s26, v1
	s_delay_alu instid0(VALU_DEP_3) | instskip(NEXT) | instid1(VALU_DEP_3)
	v_ashrrev_i32_e32 v4, 31, v3
	v_ashrrev_i32_e32 v6, 31, v5
	s_delay_alu instid0(VALU_DEP_2) | instskip(NEXT) | instid1(VALU_DEP_2)
	v_lshlrev_b64 v[3:4], 2, v[3:4]
	v_lshlrev_b64 v[5:6], 2, v[5:6]
	s_delay_alu instid0(VALU_DEP_2) | instskip(NEXT) | instid1(VALU_DEP_3)
	v_add_co_u32 v9, vcc_lo, s23, v3
	v_add_co_ci_u32_e32 v10, vcc_lo, s24, v4, vcc_lo
	s_delay_alu instid0(VALU_DEP_3) | instskip(NEXT) | instid1(VALU_DEP_4)
	v_add_co_u32 v3, vcc_lo, s11, v5
	v_add_co_ci_u32_e32 v4, vcc_lo, s18, v6, vcc_lo
	v_add_co_u32 v7, vcc_lo, s16, v5
	v_add_co_ci_u32_e32 v8, vcc_lo, s17, v6, vcc_lo
	;; [unrolled: 2-line block ×3, first 2 shown]
	s_delay_alu instid0(VALU_DEP_2) | instskip(NEXT) | instid1(VALU_DEP_2)
	v_add_co_u32 v9, vcc_lo, v5, s4
	v_add_co_ci_u32_e32 v10, vcc_lo, s5, v6, vcc_lo
	global_load_b32 v3, v[3:4], off
	global_load_b32 v4, v[7:8], off
	s_clause 0x1
	global_load_b32 v7, v[5:6], off
	global_load_b32 v8, v[9:10], off
	v_cmp_le_i32_e32 vcc_lo, s8, v1
	s_or_b32 s19, vcc_lo, s19
	s_waitcnt vmcnt(0)
	v_mul_f32_e32 v11, v4, v8
	v_mul_f32_e32 v8, v3, v8
	s_delay_alu instid0(VALU_DEP_2) | instskip(NEXT) | instid1(VALU_DEP_2)
	v_fma_f32 v3, v3, v7, -v11
	v_fmac_f32_e32 v8, v4, v7
	s_clause 0x1
	global_store_b32 v[5:6], v3, off
	global_store_b32 v[9:10], v8, off
	s_and_not1_b32 exec_lo, exec_lo, s19
	s_cbranch_execnz .LBB13_2
.LBB13_3:
	s_or_b32 exec_lo, exec_lo, s22
	s_mul_i32 s4, s2, s9
	s_mov_b32 s3, exec_lo
	v_cmpx_gt_i32_e64 s4, v0
	s_cbranch_execz .LBB13_6
; %bb.4:
	s_lshl_b64 s[8:9], s[14:15], 2
	s_mul_i32 s3, s20, s7
	s_mul_hi_u32 s7, s20, s6
	s_add_u32 s5, s12, s8
	s_addc_u32 s8, s13, s9
	s_add_i32 s3, s7, s3
	s_mul_i32 s7, s21, s6
	s_mul_i32 s6, s20, s6
	s_add_i32 s7, s3, s7
	s_load_b32 s0, s[0:1], 0x64
	s_lshl_b64 s[6:7], s[6:7], 2
	s_mov_b32 s9, 0
	s_add_u32 s5, s5, s6
	s_addc_u32 s6, s8, s7
	s_abs_i32 s7, s2
	s_ashr_i32 s3, s2, 31
	v_cvt_f32_u32_e32 v1, s7
	s_sub_i32 s1, 0, s7
	s_sub_i32 s12, 0, s2
	s_delay_alu instid0(VALU_DEP_1) | instskip(SKIP_4) | instid1(VALU_DEP_1)
	v_rcp_iflag_f32_e32 v1, v1
	s_waitcnt lgkmcnt(0)
	s_and_b32 s8, s0, 0xffff
	s_waitcnt_depctr 0xfff
	v_mul_f32_e32 v1, 0x4f7ffffe, v1
	v_cvt_u32_f32_e32 v1, v1
	s_delay_alu instid0(VALU_DEP_1) | instskip(SKIP_1) | instid1(VALU_DEP_1)
	v_mul_lo_u32 v2, s1, v1
	s_lshl_b64 s[0:1], s[2:3], 2
	v_mul_hi_u32 v2, v1, v2
	s_delay_alu instid0(VALU_DEP_1)
	v_add_nc_u32_e32 v1, v1, v2
.LBB13_5:                               ; =>This Inner Loop Header: Depth=1
	v_sub_nc_u32_e32 v2, 0, v0
	v_ashrrev_i32_e32 v3, 31, v0
	s_delay_alu instid0(VALU_DEP_2) | instskip(NEXT) | instid1(VALU_DEP_2)
	v_max_i32_e32 v2, v0, v2
	v_xor_b32_e32 v3, s3, v3
	s_delay_alu instid0(VALU_DEP_2) | instskip(NEXT) | instid1(VALU_DEP_1)
	v_mul_hi_u32 v4, v2, v1
	v_mul_lo_u32 v5, v4, s7
	v_add_nc_u32_e32 v6, 1, v4
	s_delay_alu instid0(VALU_DEP_2) | instskip(NEXT) | instid1(VALU_DEP_1)
	v_sub_nc_u32_e32 v2, v2, v5
	v_subrev_nc_u32_e32 v5, s7, v2
	v_cmp_le_u32_e32 vcc_lo, s7, v2
	s_delay_alu instid0(VALU_DEP_4) | instskip(NEXT) | instid1(VALU_DEP_1)
	v_cndmask_b32_e32 v4, v4, v6, vcc_lo
	v_dual_cndmask_b32 v2, v2, v5 :: v_dual_add_nc_u32 v5, 1, v4
	s_delay_alu instid0(VALU_DEP_1) | instskip(NEXT) | instid1(VALU_DEP_2)
	v_cmp_le_u32_e32 vcc_lo, s7, v2
	v_cndmask_b32_e32 v2, v4, v5, vcc_lo
	s_delay_alu instid0(VALU_DEP_1) | instskip(NEXT) | instid1(VALU_DEP_1)
	v_xor_b32_e32 v2, v2, v3
	v_sub_nc_u32_e32 v3, v2, v3
	s_delay_alu instid0(VALU_DEP_1) | instskip(SKIP_2) | instid1(VALU_DEP_3)
	v_mul_lo_u32 v2, v3, s10
	v_mad_u64_u32 v[4:5], null, s12, v3, v[0:1]
	v_add_nc_u32_e32 v0, s8, v0
	v_ashrrev_i32_e32 v3, 31, v2
	s_delay_alu instid0(VALU_DEP_3) | instskip(NEXT) | instid1(VALU_DEP_2)
	v_ashrrev_i32_e32 v5, 31, v4
	v_lshlrev_b64 v[2:3], 2, v[2:3]
	s_delay_alu instid0(VALU_DEP_2) | instskip(NEXT) | instid1(VALU_DEP_2)
	v_lshlrev_b64 v[4:5], 2, v[4:5]
	v_add_co_u32 v8, vcc_lo, s5, v2
	s_delay_alu instid0(VALU_DEP_3) | instskip(NEXT) | instid1(VALU_DEP_3)
	v_add_co_ci_u32_e32 v9, vcc_lo, s6, v3, vcc_lo
	v_add_co_u32 v2, vcc_lo, s11, v4
	s_delay_alu instid0(VALU_DEP_4) | instskip(SKIP_4) | instid1(VALU_DEP_2)
	v_add_co_ci_u32_e32 v3, vcc_lo, s18, v5, vcc_lo
	v_add_co_u32 v6, vcc_lo, s16, v4
	v_add_co_ci_u32_e32 v7, vcc_lo, s17, v5, vcc_lo
	v_add_co_u32 v4, vcc_lo, v8, v4
	;; [unrolled: 2-line block ×3, first 2 shown]
	s_delay_alu instid0(VALU_DEP_2)
	v_add_co_ci_u32_e32 v9, vcc_lo, s1, v5, vcc_lo
	global_load_b32 v2, v[2:3], off
	global_load_b32 v3, v[6:7], off
	s_clause 0x1
	global_load_b32 v6, v[4:5], off
	global_load_b32 v7, v[8:9], off
	v_cmp_le_i32_e32 vcc_lo, s4, v0
	s_or_b32 s9, vcc_lo, s9
	s_waitcnt vmcnt(0)
	v_mul_f32_e32 v10, v3, v7
	v_mul_f32_e32 v7, v2, v7
	s_delay_alu instid0(VALU_DEP_2) | instskip(NEXT) | instid1(VALU_DEP_2)
	v_fma_f32 v2, v2, v6, -v10
	v_fmac_f32_e32 v7, v3, v6
	s_clause 0x1
	global_store_b32 v[4:5], v2, off
	global_store_b32 v[8:9], v7, off
	s_and_not1_b32 exec_lo, exec_lo, s9
	s_cbranch_execnz .LBB13_5
.LBB13_6:
	s_nop 0
	s_sendmsg sendmsg(MSG_DEALLOC_VGPRS)
	s_endpgm
	.section	.rodata,"a",@progbits
	.p2align	6, 0x0
	.amdhsa_kernel _ZN4vllm31batched_rotary_embedding_kernelIfLb1ELb1EEEvPKlPT_S4_PKS3_S6_S2_illiii
		.amdhsa_group_segment_fixed_size 0
		.amdhsa_private_segment_fixed_size 0
		.amdhsa_kernarg_size 344
		.amdhsa_user_sgpr_count 15
		.amdhsa_user_sgpr_dispatch_ptr 0
		.amdhsa_user_sgpr_queue_ptr 0
		.amdhsa_user_sgpr_kernarg_segment_ptr 1
		.amdhsa_user_sgpr_dispatch_id 0
		.amdhsa_user_sgpr_private_segment_size 0
		.amdhsa_wavefront_size32 1
		.amdhsa_uses_dynamic_stack 0
		.amdhsa_enable_private_segment 0
		.amdhsa_system_sgpr_workgroup_id_x 1
		.amdhsa_system_sgpr_workgroup_id_y 0
		.amdhsa_system_sgpr_workgroup_id_z 0
		.amdhsa_system_sgpr_workgroup_info 0
		.amdhsa_system_vgpr_workitem_id 0
		.amdhsa_next_free_vgpr 12
		.amdhsa_next_free_sgpr 29
		.amdhsa_reserve_vcc 1
		.amdhsa_float_round_mode_32 0
		.amdhsa_float_round_mode_16_64 0
		.amdhsa_float_denorm_mode_32 3
		.amdhsa_float_denorm_mode_16_64 3
		.amdhsa_dx10_clamp 1
		.amdhsa_ieee_mode 1
		.amdhsa_fp16_overflow 0
		.amdhsa_workgroup_processor_mode 1
		.amdhsa_memory_ordered 1
		.amdhsa_forward_progress 0
		.amdhsa_shared_vgpr_count 0
		.amdhsa_exception_fp_ieee_invalid_op 0
		.amdhsa_exception_fp_denorm_src 0
		.amdhsa_exception_fp_ieee_div_zero 0
		.amdhsa_exception_fp_ieee_overflow 0
		.amdhsa_exception_fp_ieee_underflow 0
		.amdhsa_exception_fp_ieee_inexact 0
		.amdhsa_exception_int_div_zero 0
	.end_amdhsa_kernel
	.section	.text._ZN4vllm31batched_rotary_embedding_kernelIfLb1ELb1EEEvPKlPT_S4_PKS3_S6_S2_illiii,"axG",@progbits,_ZN4vllm31batched_rotary_embedding_kernelIfLb1ELb1EEEvPKlPT_S4_PKS3_S6_S2_illiii,comdat
.Lfunc_end13:
	.size	_ZN4vllm31batched_rotary_embedding_kernelIfLb1ELb1EEEvPKlPT_S4_PKS3_S6_S2_illiii, .Lfunc_end13-_ZN4vllm31batched_rotary_embedding_kernelIfLb1ELb1EEEvPKlPT_S4_PKS3_S6_S2_illiii
                                        ; -- End function
	.section	.AMDGPU.csdata,"",@progbits
; Kernel info:
; codeLenInByte = 1232
; NumSgprs: 31
; NumVgprs: 12
; ScratchSize: 0
; MemoryBound: 0
; FloatMode: 240
; IeeeMode: 1
; LDSByteSize: 0 bytes/workgroup (compile time only)
; SGPRBlocks: 3
; VGPRBlocks: 1
; NumSGPRsForWavesPerEU: 31
; NumVGPRsForWavesPerEU: 12
; Occupancy: 16
; WaveLimiterHint : 1
; COMPUTE_PGM_RSRC2:SCRATCH_EN: 0
; COMPUTE_PGM_RSRC2:USER_SGPR: 15
; COMPUTE_PGM_RSRC2:TRAP_HANDLER: 0
; COMPUTE_PGM_RSRC2:TGID_X_EN: 1
; COMPUTE_PGM_RSRC2:TGID_Y_EN: 0
; COMPUTE_PGM_RSRC2:TGID_Z_EN: 0
; COMPUTE_PGM_RSRC2:TIDIG_COMP_CNT: 0
	.section	.text._ZN4vllm31batched_rotary_embedding_kernelIfLb1ELb0EEEvPKlPT_S4_PKS3_S6_S2_illiii,"axG",@progbits,_ZN4vllm31batched_rotary_embedding_kernelIfLb1ELb0EEEvPKlPT_S4_PKS3_S6_S2_illiii,comdat
	.protected	_ZN4vllm31batched_rotary_embedding_kernelIfLb1ELb0EEEvPKlPT_S4_PKS3_S6_S2_illiii ; -- Begin function _ZN4vllm31batched_rotary_embedding_kernelIfLb1ELb0EEEvPKlPT_S4_PKS3_S6_S2_illiii
	.globl	_ZN4vllm31batched_rotary_embedding_kernelIfLb1ELb0EEEvPKlPT_S4_PKS3_S6_S2_illiii
	.p2align	8
	.type	_ZN4vllm31batched_rotary_embedding_kernelIfLb1ELb0EEEvPKlPT_S4_PKS3_S6_S2_illiii,@function
_ZN4vllm31batched_rotary_embedding_kernelIfLb1ELb0EEEvPKlPT_S4_PKS3_S6_S2_illiii: ; @_ZN4vllm31batched_rotary_embedding_kernelIfLb1ELb0EEEvPKlPT_S4_PKS3_S6_S2_illiii
; %bb.0:
	s_mov_b32 s20, s15
	s_clause 0x2
	s_load_b32 s22, s[0:1], 0x30
	s_load_b64 s[2:3], s[0:1], 0x0
	s_load_b256 s[12:19], s[0:1], 0x10
	s_ashr_i32 s21, s20, 31
	s_delay_alu instid0(SALU_CYCLE_1)
	s_lshl_b64 s[4:5], s[20:21], 3
	s_waitcnt lgkmcnt(0)
	s_ashr_i32 s6, s22, 31
	s_add_u32 s2, s2, s4
	s_addc_u32 s3, s3, s5
	s_add_u32 s4, s18, s4
	s_addc_u32 s5, s19, s5
	s_load_b64 s[2:3], s[2:3], 0x0
	s_load_b64 s[4:5], s[4:5], 0x0
	s_waitcnt lgkmcnt(0)
	s_add_u32 s2, s4, s2
	s_addc_u32 s3, s5, s3
	s_mul_i32 s4, s2, s6
	s_mul_hi_u32 s5, s2, s22
	s_mul_i32 s3, s3, s22
	s_add_i32 s18, s5, s4
	s_load_b256 s[4:11], s[0:1], 0x38
	s_add_i32 s18, s18, s3
	s_mul_i32 s2, s2, s22
	s_lshr_b32 s3, s18, 31
	s_delay_alu instid0(SALU_CYCLE_1) | instskip(SKIP_3) | instid1(SALU_CYCLE_1)
	s_add_u32 s2, s2, s3
	s_addc_u32 s3, s18, 0
	s_mov_b32 s18, 0
	s_lshl_b64 s[2:3], s[2:3], 1
	s_and_b32 s2, s2, -4
	s_waitcnt lgkmcnt(0)
	s_add_u32 s11, s14, s2
	s_addc_u32 s14, s15, s3
	s_add_u32 s15, s16, s2
	s_addc_u32 s16, s17, s3
	s_lshr_b32 s2, s22, 31
	s_mov_b32 s17, exec_lo
	s_add_i32 s22, s22, s2
	s_delay_alu instid0(SALU_CYCLE_1) | instskip(NEXT) | instid1(SALU_CYCLE_1)
	s_ashr_i32 s2, s22, 1
	s_mul_i32 s8, s2, s8
	s_delay_alu instid0(SALU_CYCLE_1)
	v_cmpx_gt_i32_e64 s8, v0
	s_cbranch_execz .LBB14_3
; %bb.1:
	s_load_b64 s[22:23], s[0:1], 0x8
	s_mul_i32 s3, s20, s5
	s_mul_hi_u32 s5, s20, s4
	s_mul_i32 s19, s21, s4
	s_add_i32 s3, s5, s3
	s_mul_i32 s4, s20, s4
	s_add_i32 s5, s3, s19
	s_load_b32 s3, s[0:1], 0x64
	s_lshl_b64 s[4:5], s[4:5], 2
	s_waitcnt lgkmcnt(0)
	s_add_u32 s19, s22, s4
	s_addc_u32 s22, s23, s5
	s_abs_i32 s23, s2
	s_sub_i32 s25, 0, s2
	v_cvt_f32_u32_e32 v1, s23
	s_sub_i32 s4, 0, s23
	s_and_b32 s24, s3, 0xffff
	s_ashr_i32 s3, s2, 31
	s_delay_alu instid0(VALU_DEP_1) | instskip(SKIP_2) | instid1(VALU_DEP_1)
	v_rcp_iflag_f32_e32 v1, v1
	s_waitcnt_depctr 0xfff
	v_mul_f32_e32 v1, 0x4f7ffffe, v1
	v_cvt_u32_f32_e32 v1, v1
	s_delay_alu instid0(VALU_DEP_1) | instskip(SKIP_1) | instid1(VALU_DEP_1)
	v_mul_lo_u32 v2, s4, v1
	s_lshl_b64 s[4:5], s[2:3], 2
	v_mul_hi_u32 v2, v1, v2
	s_delay_alu instid0(VALU_DEP_1)
	v_dual_mov_b32 v1, v0 :: v_dual_add_nc_u32 v2, v1, v2
.LBB14_2:                               ; =>This Inner Loop Header: Depth=1
	s_delay_alu instid0(VALU_DEP_1) | instskip(SKIP_1) | instid1(VALU_DEP_2)
	v_sub_nc_u32_e32 v3, 0, v1
	v_ashrrev_i32_e32 v4, 31, v1
	v_max_i32_e32 v3, v1, v3
	s_delay_alu instid0(VALU_DEP_2) | instskip(NEXT) | instid1(VALU_DEP_2)
	v_xor_b32_e32 v4, s3, v4
	v_mul_hi_u32 v5, v3, v2
	s_delay_alu instid0(VALU_DEP_1) | instskip(SKIP_1) | instid1(VALU_DEP_2)
	v_mul_lo_u32 v6, v5, s23
	v_add_nc_u32_e32 v7, 1, v5
	v_sub_nc_u32_e32 v3, v3, v6
	s_delay_alu instid0(VALU_DEP_1) | instskip(SKIP_1) | instid1(VALU_DEP_4)
	v_subrev_nc_u32_e32 v6, s23, v3
	v_cmp_le_u32_e32 vcc_lo, s23, v3
	v_cndmask_b32_e32 v5, v5, v7, vcc_lo
	s_delay_alu instid0(VALU_DEP_1) | instskip(NEXT) | instid1(VALU_DEP_1)
	v_dual_cndmask_b32 v3, v3, v6 :: v_dual_add_nc_u32 v6, 1, v5
	v_cmp_le_u32_e32 vcc_lo, s23, v3
	s_delay_alu instid0(VALU_DEP_2) | instskip(NEXT) | instid1(VALU_DEP_1)
	v_cndmask_b32_e32 v3, v5, v6, vcc_lo
	v_xor_b32_e32 v3, v3, v4
	s_delay_alu instid0(VALU_DEP_1) | instskip(NEXT) | instid1(VALU_DEP_1)
	v_sub_nc_u32_e32 v4, v3, v4
	v_mul_lo_u32 v3, v4, s10
	v_mad_u64_u32 v[5:6], null, s25, v4, v[1:2]
	v_add_nc_u32_e32 v1, s24, v1
	s_delay_alu instid0(VALU_DEP_3) | instskip(NEXT) | instid1(VALU_DEP_3)
	v_ashrrev_i32_e32 v4, 31, v3
	v_ashrrev_i32_e32 v6, 31, v5
	s_delay_alu instid0(VALU_DEP_2) | instskip(NEXT) | instid1(VALU_DEP_2)
	v_lshlrev_b64 v[3:4], 2, v[3:4]
	v_lshlrev_b64 v[5:6], 2, v[5:6]
	s_delay_alu instid0(VALU_DEP_2) | instskip(NEXT) | instid1(VALU_DEP_3)
	v_add_co_u32 v9, vcc_lo, s19, v3
	v_add_co_ci_u32_e32 v10, vcc_lo, s22, v4, vcc_lo
	s_delay_alu instid0(VALU_DEP_3) | instskip(NEXT) | instid1(VALU_DEP_4)
	v_add_co_u32 v3, vcc_lo, s11, v5
	v_add_co_ci_u32_e32 v4, vcc_lo, s14, v6, vcc_lo
	v_add_co_u32 v7, vcc_lo, s15, v5
	v_add_co_ci_u32_e32 v8, vcc_lo, s16, v6, vcc_lo
	;; [unrolled: 2-line block ×3, first 2 shown]
	s_delay_alu instid0(VALU_DEP_2) | instskip(NEXT) | instid1(VALU_DEP_2)
	v_add_co_u32 v9, vcc_lo, v5, s4
	v_add_co_ci_u32_e32 v10, vcc_lo, s5, v6, vcc_lo
	global_load_b32 v3, v[3:4], off
	global_load_b32 v4, v[7:8], off
	s_clause 0x1
	global_load_b32 v7, v[5:6], off
	global_load_b32 v8, v[9:10], off
	v_cmp_le_i32_e32 vcc_lo, s8, v1
	s_or_b32 s18, vcc_lo, s18
	s_waitcnt vmcnt(0)
	v_mul_f32_e32 v11, v4, v8
	v_mul_f32_e32 v8, v3, v8
	s_delay_alu instid0(VALU_DEP_2) | instskip(NEXT) | instid1(VALU_DEP_2)
	v_fma_f32 v3, v3, v7, -v11
	v_fmac_f32_e32 v8, v4, v7
	s_clause 0x1
	global_store_b32 v[5:6], v3, off
	global_store_b32 v[9:10], v8, off
	s_and_not1_b32 exec_lo, exec_lo, s18
	s_cbranch_execnz .LBB14_2
.LBB14_3:
	s_or_b32 exec_lo, exec_lo, s17
	s_mul_i32 s4, s2, s9
	s_mov_b32 s3, exec_lo
	v_cmpx_gt_i32_e64 s4, v0
	s_cbranch_execz .LBB14_6
; %bb.4:
	s_mul_i32 s3, s20, s7
	s_mul_hi_u32 s5, s20, s6
	s_load_b32 s0, s[0:1], 0x64
	s_add_i32 s3, s5, s3
	s_mul_i32 s5, s21, s6
	s_mul_i32 s6, s20, s6
	s_add_i32 s7, s3, s5
	s_mov_b32 s9, 0
	s_lshl_b64 s[6:7], s[6:7], 2
	s_delay_alu instid0(SALU_CYCLE_1)
	s_add_u32 s5, s12, s6
	s_addc_u32 s6, s13, s7
	s_abs_i32 s7, s2
	s_ashr_i32 s3, s2, 31
	v_cvt_f32_u32_e32 v1, s7
	s_sub_i32 s1, 0, s7
	s_sub_i32 s12, 0, s2
	s_delay_alu instid0(VALU_DEP_1) | instskip(SKIP_4) | instid1(VALU_DEP_1)
	v_rcp_iflag_f32_e32 v1, v1
	s_waitcnt lgkmcnt(0)
	s_and_b32 s8, s0, 0xffff
	s_waitcnt_depctr 0xfff
	v_mul_f32_e32 v1, 0x4f7ffffe, v1
	v_cvt_u32_f32_e32 v1, v1
	s_delay_alu instid0(VALU_DEP_1) | instskip(SKIP_1) | instid1(VALU_DEP_1)
	v_mul_lo_u32 v2, s1, v1
	s_lshl_b64 s[0:1], s[2:3], 2
	v_mul_hi_u32 v2, v1, v2
	s_delay_alu instid0(VALU_DEP_1)
	v_add_nc_u32_e32 v1, v1, v2
.LBB14_5:                               ; =>This Inner Loop Header: Depth=1
	v_sub_nc_u32_e32 v2, 0, v0
	v_ashrrev_i32_e32 v3, 31, v0
	s_delay_alu instid0(VALU_DEP_2) | instskip(NEXT) | instid1(VALU_DEP_2)
	v_max_i32_e32 v2, v0, v2
	v_xor_b32_e32 v3, s3, v3
	s_delay_alu instid0(VALU_DEP_2) | instskip(NEXT) | instid1(VALU_DEP_1)
	v_mul_hi_u32 v4, v2, v1
	v_mul_lo_u32 v5, v4, s7
	v_add_nc_u32_e32 v6, 1, v4
	s_delay_alu instid0(VALU_DEP_2) | instskip(NEXT) | instid1(VALU_DEP_1)
	v_sub_nc_u32_e32 v2, v2, v5
	v_subrev_nc_u32_e32 v5, s7, v2
	v_cmp_le_u32_e32 vcc_lo, s7, v2
	s_delay_alu instid0(VALU_DEP_4) | instskip(NEXT) | instid1(VALU_DEP_1)
	v_cndmask_b32_e32 v4, v4, v6, vcc_lo
	v_dual_cndmask_b32 v2, v2, v5 :: v_dual_add_nc_u32 v5, 1, v4
	s_delay_alu instid0(VALU_DEP_1) | instskip(NEXT) | instid1(VALU_DEP_2)
	v_cmp_le_u32_e32 vcc_lo, s7, v2
	v_cndmask_b32_e32 v2, v4, v5, vcc_lo
	s_delay_alu instid0(VALU_DEP_1) | instskip(NEXT) | instid1(VALU_DEP_1)
	v_xor_b32_e32 v2, v2, v3
	v_sub_nc_u32_e32 v3, v2, v3
	s_delay_alu instid0(VALU_DEP_1) | instskip(SKIP_2) | instid1(VALU_DEP_3)
	v_mul_lo_u32 v2, v3, s10
	v_mad_u64_u32 v[4:5], null, s12, v3, v[0:1]
	v_add_nc_u32_e32 v0, s8, v0
	v_ashrrev_i32_e32 v3, 31, v2
	s_delay_alu instid0(VALU_DEP_3) | instskip(NEXT) | instid1(VALU_DEP_2)
	v_ashrrev_i32_e32 v5, 31, v4
	v_lshlrev_b64 v[2:3], 2, v[2:3]
	s_delay_alu instid0(VALU_DEP_2) | instskip(NEXT) | instid1(VALU_DEP_2)
	v_lshlrev_b64 v[4:5], 2, v[4:5]
	v_add_co_u32 v8, vcc_lo, s5, v2
	s_delay_alu instid0(VALU_DEP_3) | instskip(NEXT) | instid1(VALU_DEP_3)
	v_add_co_ci_u32_e32 v9, vcc_lo, s6, v3, vcc_lo
	v_add_co_u32 v2, vcc_lo, s11, v4
	s_delay_alu instid0(VALU_DEP_4) | instskip(SKIP_4) | instid1(VALU_DEP_2)
	v_add_co_ci_u32_e32 v3, vcc_lo, s14, v5, vcc_lo
	v_add_co_u32 v6, vcc_lo, s15, v4
	v_add_co_ci_u32_e32 v7, vcc_lo, s16, v5, vcc_lo
	v_add_co_u32 v4, vcc_lo, v8, v4
	;; [unrolled: 2-line block ×3, first 2 shown]
	s_delay_alu instid0(VALU_DEP_2)
	v_add_co_ci_u32_e32 v9, vcc_lo, s1, v5, vcc_lo
	global_load_b32 v2, v[2:3], off
	global_load_b32 v3, v[6:7], off
	s_clause 0x1
	global_load_b32 v6, v[4:5], off
	global_load_b32 v7, v[8:9], off
	v_cmp_le_i32_e32 vcc_lo, s4, v0
	s_or_b32 s9, vcc_lo, s9
	s_waitcnt vmcnt(0)
	v_mul_f32_e32 v10, v3, v7
	v_mul_f32_e32 v7, v2, v7
	s_delay_alu instid0(VALU_DEP_2) | instskip(NEXT) | instid1(VALU_DEP_2)
	v_fma_f32 v2, v2, v6, -v10
	v_fmac_f32_e32 v7, v3, v6
	s_clause 0x1
	global_store_b32 v[4:5], v2, off
	global_store_b32 v[8:9], v7, off
	s_and_not1_b32 exec_lo, exec_lo, s9
	s_cbranch_execnz .LBB14_5
.LBB14_6:
	s_nop 0
	s_sendmsg sendmsg(MSG_DEALLOC_VGPRS)
	s_endpgm
	.section	.rodata,"a",@progbits
	.p2align	6, 0x0
	.amdhsa_kernel _ZN4vllm31batched_rotary_embedding_kernelIfLb1ELb0EEEvPKlPT_S4_PKS3_S6_S2_illiii
		.amdhsa_group_segment_fixed_size 0
		.amdhsa_private_segment_fixed_size 0
		.amdhsa_kernarg_size 344
		.amdhsa_user_sgpr_count 15
		.amdhsa_user_sgpr_dispatch_ptr 0
		.amdhsa_user_sgpr_queue_ptr 0
		.amdhsa_user_sgpr_kernarg_segment_ptr 1
		.amdhsa_user_sgpr_dispatch_id 0
		.amdhsa_user_sgpr_private_segment_size 0
		.amdhsa_wavefront_size32 1
		.amdhsa_uses_dynamic_stack 0
		.amdhsa_enable_private_segment 0
		.amdhsa_system_sgpr_workgroup_id_x 1
		.amdhsa_system_sgpr_workgroup_id_y 0
		.amdhsa_system_sgpr_workgroup_id_z 0
		.amdhsa_system_sgpr_workgroup_info 0
		.amdhsa_system_vgpr_workitem_id 0
		.amdhsa_next_free_vgpr 12
		.amdhsa_next_free_sgpr 26
		.amdhsa_reserve_vcc 1
		.amdhsa_float_round_mode_32 0
		.amdhsa_float_round_mode_16_64 0
		.amdhsa_float_denorm_mode_32 3
		.amdhsa_float_denorm_mode_16_64 3
		.amdhsa_dx10_clamp 1
		.amdhsa_ieee_mode 1
		.amdhsa_fp16_overflow 0
		.amdhsa_workgroup_processor_mode 1
		.amdhsa_memory_ordered 1
		.amdhsa_forward_progress 0
		.amdhsa_shared_vgpr_count 0
		.amdhsa_exception_fp_ieee_invalid_op 0
		.amdhsa_exception_fp_denorm_src 0
		.amdhsa_exception_fp_ieee_div_zero 0
		.amdhsa_exception_fp_ieee_overflow 0
		.amdhsa_exception_fp_ieee_underflow 0
		.amdhsa_exception_fp_ieee_inexact 0
		.amdhsa_exception_int_div_zero 0
	.end_amdhsa_kernel
	.section	.text._ZN4vllm31batched_rotary_embedding_kernelIfLb1ELb0EEEvPKlPT_S4_PKS3_S6_S2_illiii,"axG",@progbits,_ZN4vllm31batched_rotary_embedding_kernelIfLb1ELb0EEEvPKlPT_S4_PKS3_S6_S2_illiii,comdat
.Lfunc_end14:
	.size	_ZN4vllm31batched_rotary_embedding_kernelIfLb1ELb0EEEvPKlPT_S4_PKS3_S6_S2_illiii, .Lfunc_end14-_ZN4vllm31batched_rotary_embedding_kernelIfLb1ELb0EEEvPKlPT_S4_PKS3_S6_S2_illiii
                                        ; -- End function
	.section	.AMDGPU.csdata,"",@progbits
; Kernel info:
; codeLenInByte = 1192
; NumSgprs: 28
; NumVgprs: 12
; ScratchSize: 0
; MemoryBound: 0
; FloatMode: 240
; IeeeMode: 1
; LDSByteSize: 0 bytes/workgroup (compile time only)
; SGPRBlocks: 3
; VGPRBlocks: 1
; NumSGPRsForWavesPerEU: 28
; NumVGPRsForWavesPerEU: 12
; Occupancy: 16
; WaveLimiterHint : 1
; COMPUTE_PGM_RSRC2:SCRATCH_EN: 0
; COMPUTE_PGM_RSRC2:USER_SGPR: 15
; COMPUTE_PGM_RSRC2:TRAP_HANDLER: 0
; COMPUTE_PGM_RSRC2:TGID_X_EN: 1
; COMPUTE_PGM_RSRC2:TGID_Y_EN: 0
; COMPUTE_PGM_RSRC2:TGID_Z_EN: 0
; COMPUTE_PGM_RSRC2:TIDIG_COMP_CNT: 0
	.section	.text._ZN4vllm31batched_rotary_embedding_kernelIfLb0ELb1EEEvPKlPT_S4_PKS3_S6_S2_illiii,"axG",@progbits,_ZN4vllm31batched_rotary_embedding_kernelIfLb0ELb1EEEvPKlPT_S4_PKS3_S6_S2_illiii,comdat
	.protected	_ZN4vllm31batched_rotary_embedding_kernelIfLb0ELb1EEEvPKlPT_S4_PKS3_S6_S2_illiii ; -- Begin function _ZN4vllm31batched_rotary_embedding_kernelIfLb0ELb1EEEvPKlPT_S4_PKS3_S6_S2_illiii
	.globl	_ZN4vllm31batched_rotary_embedding_kernelIfLb0ELb1EEEvPKlPT_S4_PKS3_S6_S2_illiii
	.p2align	8
	.type	_ZN4vllm31batched_rotary_embedding_kernelIfLb0ELb1EEEvPKlPT_S4_PKS3_S6_S2_illiii,@function
_ZN4vllm31batched_rotary_embedding_kernelIfLb0ELb1EEEvPKlPT_S4_PKS3_S6_S2_illiii: ; @_ZN4vllm31batched_rotary_embedding_kernelIfLb0ELb1EEEvPKlPT_S4_PKS3_S6_S2_illiii
; %bb.0:
	s_mov_b32 s2, s15
	s_clause 0x2
	s_load_b32 s20, s[0:1], 0x30
	s_load_b64 s[4:5], s[0:1], 0x0
	s_load_b256 s[12:19], s[0:1], 0x10
	s_ashr_i32 s3, s2, 31
	v_lshlrev_b32_e32 v1, 1, v0
	s_lshl_b64 s[6:7], s[2:3], 3
	s_waitcnt lgkmcnt(0)
	s_ashr_i32 s8, s20, 31
	s_add_u32 s4, s4, s6
	s_addc_u32 s5, s5, s7
	s_add_u32 s6, s18, s6
	s_addc_u32 s7, s19, s7
	s_load_b64 s[4:5], s[4:5], 0x0
	s_load_b64 s[6:7], s[6:7], 0x0
	s_waitcnt lgkmcnt(0)
	s_add_u32 s18, s6, s4
	s_addc_u32 s4, s7, s5
	s_mul_i32 s5, s18, s8
	s_mul_hi_u32 s6, s18, s20
	s_mul_i32 s19, s4, s20
	s_add_i32 s21, s6, s5
	s_load_b256 s[4:11], s[0:1], 0x38
	s_add_i32 s21, s21, s19
	s_mul_i32 s18, s18, s20
	s_waitcnt lgkmcnt(0)
	s_lshr_b32 s11, s21, 31
	s_delay_alu instid0(SALU_CYCLE_1) | instskip(SKIP_1) | instid1(SALU_CYCLE_1)
	s_add_u32 s18, s18, s11
	s_addc_u32 s19, s21, 0
	s_lshl_b64 s[18:19], s[18:19], 1
	s_delay_alu instid0(SALU_CYCLE_1) | instskip(NEXT) | instid1(SALU_CYCLE_1)
	s_and_b32 s21, s18, -4
	s_add_u32 s11, s14, s21
	s_addc_u32 s18, s15, s19
	s_add_u32 s16, s16, s21
	s_addc_u32 s17, s17, s19
	s_lshr_b32 s14, s20, 31
	s_mov_b32 s21, exec_lo
	s_add_i32 s14, s20, s14
	s_delay_alu instid0(SALU_CYCLE_1)
	s_ashr_i32 s19, s14, 1
	s_sub_i32 s14, s10, s20
	s_mul_i32 s8, s19, s8
	s_mov_b32 s20, 0
	s_ashr_i32 s15, s14, 31
	v_cmpx_gt_i32_e64 s8, v0
	s_cbranch_execz .LBB15_3
; %bb.1:
	s_clause 0x1
	s_load_b64 s[22:23], s[0:1], 0x8
	s_load_b32 s28, s[0:1], 0x64
	s_lshl_b64 s[24:25], s[14:15], 2
	s_mul_i32 s5, s2, s5
	s_mul_hi_u32 s26, s2, s4
	s_mul_i32 s27, s3, s4
	s_mul_i32 s4, s2, s4
	s_waitcnt lgkmcnt(0)
	s_add_u32 s22, s22, s24
	s_addc_u32 s23, s23, s25
	s_add_i32 s5, s26, s5
	s_delay_alu instid0(SALU_CYCLE_1) | instskip(NEXT) | instid1(SALU_CYCLE_1)
	s_add_i32 s5, s5, s27
	s_lshl_b64 s[4:5], s[4:5], 2
	s_delay_alu instid0(SALU_CYCLE_1)
	s_add_u32 s4, s22, s4
	s_addc_u32 s5, s23, s5
	s_abs_i32 s22, s19
	s_lshl_b32 s25, s19, 1
	v_cvt_f32_u32_e32 v2, s22
	s_sub_i32 s23, 0, s22
	s_ashr_i32 s24, s19, 31
	s_sub_i32 s25, 0, s25
	s_sub_i32 s27, 0, s19
	v_rcp_iflag_f32_e32 v2, v2
	s_waitcnt_depctr 0xfff
	v_mul_f32_e32 v2, 0x4f7ffffe, v2
	s_delay_alu instid0(VALU_DEP_1) | instskip(NEXT) | instid1(VALU_DEP_1)
	v_cvt_u32_f32_e32 v3, v2
	v_mul_lo_u32 v2, s23, v3
	s_and_b32 s23, s28, 0xffff
	s_delay_alu instid0(SALU_CYCLE_1) | instskip(NEXT) | instid1(VALU_DEP_1)
	s_lshl_b32 s26, s23, 1
	v_mul_hi_u32 v4, v3, v2
	v_lshlrev_b32_e32 v2, 1, v0
	s_delay_alu instid0(VALU_DEP_2)
	v_dual_mov_b32 v3, v0 :: v_dual_add_nc_u32 v4, v3, v4
.LBB15_2:                               ; =>This Inner Loop Header: Depth=1
	s_delay_alu instid0(VALU_DEP_1) | instskip(SKIP_1) | instid1(VALU_DEP_2)
	v_sub_nc_u32_e32 v5, 0, v3
	v_ashrrev_i32_e32 v6, 31, v3
	v_max_i32_e32 v5, v3, v5
	s_delay_alu instid0(VALU_DEP_2) | instskip(NEXT) | instid1(VALU_DEP_2)
	v_xor_b32_e32 v6, s24, v6
	v_mul_hi_u32 v7, v5, v4
	s_delay_alu instid0(VALU_DEP_1) | instskip(SKIP_1) | instid1(VALU_DEP_2)
	v_mul_lo_u32 v8, v7, s22
	v_add_nc_u32_e32 v9, 1, v7
	v_sub_nc_u32_e32 v5, v5, v8
	s_delay_alu instid0(VALU_DEP_1) | instskip(SKIP_1) | instid1(VALU_DEP_4)
	v_subrev_nc_u32_e32 v8, s22, v5
	v_cmp_le_u32_e32 vcc_lo, s22, v5
	v_cndmask_b32_e32 v7, v7, v9, vcc_lo
	s_delay_alu instid0(VALU_DEP_1) | instskip(NEXT) | instid1(VALU_DEP_1)
	v_dual_cndmask_b32 v5, v5, v8 :: v_dual_add_nc_u32 v8, 1, v7
	v_cmp_le_u32_e32 vcc_lo, s22, v5
	s_delay_alu instid0(VALU_DEP_2) | instskip(NEXT) | instid1(VALU_DEP_1)
	v_cndmask_b32_e32 v5, v7, v8, vcc_lo
	v_xor_b32_e32 v5, v5, v6
	s_delay_alu instid0(VALU_DEP_1) | instskip(NEXT) | instid1(VALU_DEP_1)
	v_sub_nc_u32_e32 v6, v5, v6
	v_mul_lo_u32 v5, v6, s10
	v_mad_u64_u32 v[7:8], null, s27, v6, v[3:4]
	v_mad_u64_u32 v[9:10], null, s25, v6, v[2:3]
	v_add_nc_u32_e32 v3, s23, v3
	v_add_nc_u32_e32 v2, s26, v2
	v_ashrrev_i32_e32 v6, 31, v5
	v_ashrrev_i32_e32 v8, 31, v7
	;; [unrolled: 1-line block ×3, first 2 shown]
	s_delay_alu instid0(VALU_DEP_3) | instskip(NEXT) | instid1(VALU_DEP_3)
	v_lshlrev_b64 v[5:6], 2, v[5:6]
	v_lshlrev_b64 v[7:8], 2, v[7:8]
	s_delay_alu instid0(VALU_DEP_3) | instskip(NEXT) | instid1(VALU_DEP_3)
	v_lshlrev_b64 v[9:10], 2, v[9:10]
	v_add_co_u32 v11, vcc_lo, s4, v5
	s_delay_alu instid0(VALU_DEP_4) | instskip(NEXT) | instid1(VALU_DEP_4)
	v_add_co_ci_u32_e32 v12, vcc_lo, s5, v6, vcc_lo
	v_add_co_u32 v5, vcc_lo, s11, v7
	v_add_co_ci_u32_e32 v6, vcc_lo, s18, v8, vcc_lo
	v_add_co_u32 v7, vcc_lo, s16, v7
	;; [unrolled: 2-line block ×3, first 2 shown]
	v_add_co_ci_u32_e32 v10, vcc_lo, v12, v10, vcc_lo
	global_load_b32 v11, v[5:6], off
	global_load_b32 v8, v[7:8], off
	global_load_b64 v[5:6], v[9:10], off
	v_cmp_le_i32_e32 vcc_lo, s8, v3
	s_or_b32 s20, vcc_lo, s20
	s_waitcnt vmcnt(0)
	v_mul_f32_e32 v12, v8, v6
	v_mul_f32_e32 v7, v11, v6
	s_delay_alu instid0(VALU_DEP_2) | instskip(NEXT) | instid1(VALU_DEP_2)
	v_fma_f32 v6, v11, v5, -v12
	v_fmac_f32_e32 v7, v8, v5
	global_store_b64 v[9:10], v[6:7], off
	s_and_not1_b32 exec_lo, exec_lo, s20
	s_cbranch_execnz .LBB15_2
.LBB15_3:
	s_or_b32 exec_lo, exec_lo, s21
	s_mul_i32 s4, s19, s9
	s_mov_b32 s5, exec_lo
	v_cmpx_gt_i32_e64 s4, v0
	s_cbranch_execz .LBB15_6
; %bb.4:
	s_lshl_b64 s[8:9], s[14:15], 2
	s_mul_i32 s5, s2, s7
	s_add_u32 s7, s12, s8
	s_mul_hi_u32 s8, s2, s6
	s_addc_u32 s9, s13, s9
	s_add_i32 s5, s8, s5
	s_mul_i32 s3, s3, s6
	s_mul_i32 s2, s2, s6
	s_add_i32 s3, s5, s3
	s_load_b32 s0, s[0:1], 0x64
	s_lshl_b64 s[2:3], s[2:3], 2
	s_mov_b32 s6, 0
	s_add_u32 s2, s7, s2
	s_addc_u32 s3, s9, s3
	s_abs_i32 s5, s19
	s_lshl_b32 s7, s19, 1
	v_cvt_f32_u32_e32 v2, s5
	s_sub_i32 s1, 0, s5
	s_sub_i32 s7, 0, s7
	;; [unrolled: 1-line block ×3, first 2 shown]
	s_delay_alu instid0(VALU_DEP_1)
	v_rcp_iflag_f32_e32 v2, v2
	s_waitcnt lgkmcnt(0)
	s_and_b32 s0, s0, 0xffff
	s_waitcnt_depctr 0xfff
	v_mul_f32_e32 v2, 0x4f7ffffe, v2
	s_lshl_b32 s8, s0, 1
	s_delay_alu instid0(VALU_DEP_1) | instskip(NEXT) | instid1(VALU_DEP_1)
	v_cvt_u32_f32_e32 v2, v2
	v_mul_lo_u32 v3, s1, v2
	s_ashr_i32 s1, s19, 31
	s_delay_alu instid0(VALU_DEP_1) | instskip(NEXT) | instid1(VALU_DEP_1)
	v_mul_hi_u32 v3, v2, v3
	v_add_nc_u32_e32 v2, v2, v3
.LBB15_5:                               ; =>This Inner Loop Header: Depth=1
	v_sub_nc_u32_e32 v3, 0, v0
	v_ashrrev_i32_e32 v4, 31, v0
	s_delay_alu instid0(VALU_DEP_2) | instskip(NEXT) | instid1(VALU_DEP_2)
	v_max_i32_e32 v3, v0, v3
	v_xor_b32_e32 v4, s1, v4
	s_delay_alu instid0(VALU_DEP_2) | instskip(NEXT) | instid1(VALU_DEP_1)
	v_mul_hi_u32 v5, v3, v2
	v_mul_lo_u32 v6, v5, s5
	v_add_nc_u32_e32 v7, 1, v5
	s_delay_alu instid0(VALU_DEP_2) | instskip(NEXT) | instid1(VALU_DEP_1)
	v_sub_nc_u32_e32 v3, v3, v6
	v_subrev_nc_u32_e32 v6, s5, v3
	v_cmp_le_u32_e32 vcc_lo, s5, v3
	s_delay_alu instid0(VALU_DEP_4) | instskip(NEXT) | instid1(VALU_DEP_1)
	v_cndmask_b32_e32 v5, v5, v7, vcc_lo
	v_dual_cndmask_b32 v3, v3, v6 :: v_dual_add_nc_u32 v6, 1, v5
	s_delay_alu instid0(VALU_DEP_1) | instskip(NEXT) | instid1(VALU_DEP_2)
	v_cmp_le_u32_e32 vcc_lo, s5, v3
	v_cndmask_b32_e32 v3, v5, v6, vcc_lo
	s_delay_alu instid0(VALU_DEP_1) | instskip(NEXT) | instid1(VALU_DEP_1)
	v_xor_b32_e32 v3, v3, v4
	v_sub_nc_u32_e32 v4, v3, v4
	s_delay_alu instid0(VALU_DEP_1)
	v_mul_lo_u32 v3, v4, s10
	v_mad_u64_u32 v[5:6], null, s9, v4, v[0:1]
	v_mad_u64_u32 v[7:8], null, s7, v4, v[1:2]
	v_add_nc_u32_e32 v0, s0, v0
	v_add_nc_u32_e32 v1, s8, v1
	v_ashrrev_i32_e32 v4, 31, v3
	v_ashrrev_i32_e32 v6, 31, v5
	;; [unrolled: 1-line block ×3, first 2 shown]
	s_delay_alu instid0(VALU_DEP_3) | instskip(NEXT) | instid1(VALU_DEP_3)
	v_lshlrev_b64 v[3:4], 2, v[3:4]
	v_lshlrev_b64 v[5:6], 2, v[5:6]
	s_delay_alu instid0(VALU_DEP_3) | instskip(NEXT) | instid1(VALU_DEP_3)
	v_lshlrev_b64 v[7:8], 2, v[7:8]
	v_add_co_u32 v9, vcc_lo, s2, v3
	s_delay_alu instid0(VALU_DEP_4) | instskip(NEXT) | instid1(VALU_DEP_4)
	v_add_co_ci_u32_e32 v10, vcc_lo, s3, v4, vcc_lo
	v_add_co_u32 v3, vcc_lo, s11, v5
	v_add_co_ci_u32_e32 v4, vcc_lo, s18, v6, vcc_lo
	v_add_co_u32 v5, vcc_lo, s16, v5
	;; [unrolled: 2-line block ×3, first 2 shown]
	v_add_co_ci_u32_e32 v8, vcc_lo, v10, v8, vcc_lo
	global_load_b32 v9, v[3:4], off
	global_load_b32 v6, v[5:6], off
	global_load_b64 v[3:4], v[7:8], off
	v_cmp_le_i32_e32 vcc_lo, s4, v0
	s_or_b32 s6, vcc_lo, s6
	s_waitcnt vmcnt(0)
	v_mul_f32_e32 v10, v6, v4
	v_mul_f32_e32 v5, v9, v4
	s_delay_alu instid0(VALU_DEP_2) | instskip(NEXT) | instid1(VALU_DEP_2)
	v_fma_f32 v4, v9, v3, -v10
	v_fmac_f32_e32 v5, v6, v3
	global_store_b64 v[7:8], v[4:5], off
	s_and_not1_b32 exec_lo, exec_lo, s6
	s_cbranch_execnz .LBB15_5
.LBB15_6:
	s_nop 0
	s_sendmsg sendmsg(MSG_DEALLOC_VGPRS)
	s_endpgm
	.section	.rodata,"a",@progbits
	.p2align	6, 0x0
	.amdhsa_kernel _ZN4vllm31batched_rotary_embedding_kernelIfLb0ELb1EEEvPKlPT_S4_PKS3_S6_S2_illiii
		.amdhsa_group_segment_fixed_size 0
		.amdhsa_private_segment_fixed_size 0
		.amdhsa_kernarg_size 344
		.amdhsa_user_sgpr_count 15
		.amdhsa_user_sgpr_dispatch_ptr 0
		.amdhsa_user_sgpr_queue_ptr 0
		.amdhsa_user_sgpr_kernarg_segment_ptr 1
		.amdhsa_user_sgpr_dispatch_id 0
		.amdhsa_user_sgpr_private_segment_size 0
		.amdhsa_wavefront_size32 1
		.amdhsa_uses_dynamic_stack 0
		.amdhsa_enable_private_segment 0
		.amdhsa_system_sgpr_workgroup_id_x 1
		.amdhsa_system_sgpr_workgroup_id_y 0
		.amdhsa_system_sgpr_workgroup_id_z 0
		.amdhsa_system_sgpr_workgroup_info 0
		.amdhsa_system_vgpr_workitem_id 0
		.amdhsa_next_free_vgpr 13
		.amdhsa_next_free_sgpr 29
		.amdhsa_reserve_vcc 1
		.amdhsa_float_round_mode_32 0
		.amdhsa_float_round_mode_16_64 0
		.amdhsa_float_denorm_mode_32 3
		.amdhsa_float_denorm_mode_16_64 3
		.amdhsa_dx10_clamp 1
		.amdhsa_ieee_mode 1
		.amdhsa_fp16_overflow 0
		.amdhsa_workgroup_processor_mode 1
		.amdhsa_memory_ordered 1
		.amdhsa_forward_progress 0
		.amdhsa_shared_vgpr_count 0
		.amdhsa_exception_fp_ieee_invalid_op 0
		.amdhsa_exception_fp_denorm_src 0
		.amdhsa_exception_fp_ieee_div_zero 0
		.amdhsa_exception_fp_ieee_overflow 0
		.amdhsa_exception_fp_ieee_underflow 0
		.amdhsa_exception_fp_ieee_inexact 0
		.amdhsa_exception_int_div_zero 0
	.end_amdhsa_kernel
	.section	.text._ZN4vllm31batched_rotary_embedding_kernelIfLb0ELb1EEEvPKlPT_S4_PKS3_S6_S2_illiii,"axG",@progbits,_ZN4vllm31batched_rotary_embedding_kernelIfLb0ELb1EEEvPKlPT_S4_PKS3_S6_S2_illiii,comdat
.Lfunc_end15:
	.size	_ZN4vllm31batched_rotary_embedding_kernelIfLb0ELb1EEEvPKlPT_S4_PKS3_S6_S2_illiii, .Lfunc_end15-_ZN4vllm31batched_rotary_embedding_kernelIfLb0ELb1EEEvPKlPT_S4_PKS3_S6_S2_illiii
                                        ; -- End function
	.section	.AMDGPU.csdata,"",@progbits
; Kernel info:
; codeLenInByte = 1212
; NumSgprs: 31
; NumVgprs: 13
; ScratchSize: 0
; MemoryBound: 0
; FloatMode: 240
; IeeeMode: 1
; LDSByteSize: 0 bytes/workgroup (compile time only)
; SGPRBlocks: 3
; VGPRBlocks: 1
; NumSGPRsForWavesPerEU: 31
; NumVGPRsForWavesPerEU: 13
; Occupancy: 16
; WaveLimiterHint : 1
; COMPUTE_PGM_RSRC2:SCRATCH_EN: 0
; COMPUTE_PGM_RSRC2:USER_SGPR: 15
; COMPUTE_PGM_RSRC2:TRAP_HANDLER: 0
; COMPUTE_PGM_RSRC2:TGID_X_EN: 1
; COMPUTE_PGM_RSRC2:TGID_Y_EN: 0
; COMPUTE_PGM_RSRC2:TGID_Z_EN: 0
; COMPUTE_PGM_RSRC2:TIDIG_COMP_CNT: 0
	.section	.text._ZN4vllm31batched_rotary_embedding_kernelIfLb0ELb0EEEvPKlPT_S4_PKS3_S6_S2_illiii,"axG",@progbits,_ZN4vllm31batched_rotary_embedding_kernelIfLb0ELb0EEEvPKlPT_S4_PKS3_S6_S2_illiii,comdat
	.protected	_ZN4vllm31batched_rotary_embedding_kernelIfLb0ELb0EEEvPKlPT_S4_PKS3_S6_S2_illiii ; -- Begin function _ZN4vllm31batched_rotary_embedding_kernelIfLb0ELb0EEEvPKlPT_S4_PKS3_S6_S2_illiii
	.globl	_ZN4vllm31batched_rotary_embedding_kernelIfLb0ELb0EEEvPKlPT_S4_PKS3_S6_S2_illiii
	.p2align	8
	.type	_ZN4vllm31batched_rotary_embedding_kernelIfLb0ELb0EEEvPKlPT_S4_PKS3_S6_S2_illiii,@function
_ZN4vllm31batched_rotary_embedding_kernelIfLb0ELb0EEEvPKlPT_S4_PKS3_S6_S2_illiii: ; @_ZN4vllm31batched_rotary_embedding_kernelIfLb0ELb0EEEvPKlPT_S4_PKS3_S6_S2_illiii
; %bb.0:
	s_mov_b32 s2, s15
	s_clause 0x2
	s_load_b32 s20, s[0:1], 0x30
	s_load_b64 s[4:5], s[0:1], 0x0
	s_load_b256 s[12:19], s[0:1], 0x10
	s_ashr_i32 s3, s2, 31
	v_lshlrev_b32_e32 v1, 1, v0
	s_lshl_b64 s[6:7], s[2:3], 3
	s_waitcnt lgkmcnt(0)
	s_ashr_i32 s8, s20, 31
	s_add_u32 s4, s4, s6
	s_addc_u32 s5, s5, s7
	s_add_u32 s6, s18, s6
	s_addc_u32 s7, s19, s7
	s_load_b64 s[4:5], s[4:5], 0x0
	s_load_b64 s[6:7], s[6:7], 0x0
	s_waitcnt lgkmcnt(0)
	s_add_u32 s18, s6, s4
	s_addc_u32 s4, s7, s5
	s_mul_i32 s5, s18, s8
	s_mul_hi_u32 s6, s18, s20
	s_mul_i32 s19, s4, s20
	s_add_i32 s21, s6, s5
	s_load_b256 s[4:11], s[0:1], 0x38
	s_add_i32 s21, s21, s19
	s_mul_i32 s18, s18, s20
	s_waitcnt lgkmcnt(0)
	s_lshr_b32 s11, s21, 31
	s_delay_alu instid0(SALU_CYCLE_1) | instskip(SKIP_1) | instid1(SALU_CYCLE_1)
	s_add_u32 s18, s18, s11
	s_addc_u32 s19, s21, 0
	s_lshl_b64 s[18:19], s[18:19], 1
	s_delay_alu instid0(SALU_CYCLE_1) | instskip(NEXT) | instid1(SALU_CYCLE_1)
	s_and_b32 s18, s18, -4
	s_add_u32 s11, s14, s18
	s_addc_u32 s14, s15, s19
	s_add_u32 s15, s16, s18
	s_addc_u32 s16, s17, s19
	s_lshr_b32 s17, s20, 31
	s_mov_b32 s19, 0
	s_add_i32 s20, s20, s17
	s_mov_b32 s18, exec_lo
	s_ashr_i32 s17, s20, 1
	s_delay_alu instid0(SALU_CYCLE_1) | instskip(NEXT) | instid1(SALU_CYCLE_1)
	s_mul_i32 s8, s17, s8
	v_cmpx_gt_i32_e64 s8, v0
	s_cbranch_execz .LBB16_3
; %bb.1:
	s_load_b64 s[20:21], s[0:1], 0x8
	s_mul_i32 s5, s2, s5
	s_mul_hi_u32 s22, s2, s4
	s_mul_i32 s23, s3, s4
	s_add_i32 s5, s22, s5
	s_load_b32 s22, s[0:1], 0x64
	s_mul_i32 s4, s2, s4
	s_add_i32 s5, s5, s23
	s_delay_alu instid0(SALU_CYCLE_1)
	s_lshl_b64 s[4:5], s[4:5], 2
	s_waitcnt lgkmcnt(0)
	s_add_u32 s4, s20, s4
	s_addc_u32 s5, s21, s5
	s_abs_i32 s20, s17
	s_lshl_b32 s23, s17, 1
	v_cvt_f32_u32_e32 v2, s20
	s_sub_i32 s21, 0, s20
	s_sub_i32 s23, 0, s23
	s_sub_i32 s25, 0, s17
	s_delay_alu instid0(VALU_DEP_1) | instskip(SKIP_2) | instid1(VALU_DEP_1)
	v_rcp_iflag_f32_e32 v2, v2
	s_waitcnt_depctr 0xfff
	v_mul_f32_e32 v2, 0x4f7ffffe, v2
	v_cvt_u32_f32_e32 v3, v2
	s_delay_alu instid0(VALU_DEP_1) | instskip(SKIP_3) | instid1(VALU_DEP_1)
	v_mul_lo_u32 v2, s21, v3
	s_and_b32 s21, s22, 0xffff
	s_ashr_i32 s22, s17, 31
	s_lshl_b32 s24, s21, 1
	v_mul_hi_u32 v4, v3, v2
	v_lshlrev_b32_e32 v2, 1, v0
	s_delay_alu instid0(VALU_DEP_2)
	v_dual_mov_b32 v3, v0 :: v_dual_add_nc_u32 v4, v3, v4
.LBB16_2:                               ; =>This Inner Loop Header: Depth=1
	s_delay_alu instid0(VALU_DEP_1) | instskip(SKIP_1) | instid1(VALU_DEP_2)
	v_sub_nc_u32_e32 v5, 0, v3
	v_ashrrev_i32_e32 v6, 31, v3
	v_max_i32_e32 v5, v3, v5
	s_delay_alu instid0(VALU_DEP_2) | instskip(NEXT) | instid1(VALU_DEP_2)
	v_xor_b32_e32 v6, s22, v6
	v_mul_hi_u32 v7, v5, v4
	s_delay_alu instid0(VALU_DEP_1) | instskip(SKIP_1) | instid1(VALU_DEP_2)
	v_mul_lo_u32 v8, v7, s20
	v_add_nc_u32_e32 v9, 1, v7
	v_sub_nc_u32_e32 v5, v5, v8
	s_delay_alu instid0(VALU_DEP_1) | instskip(SKIP_1) | instid1(VALU_DEP_4)
	v_subrev_nc_u32_e32 v8, s20, v5
	v_cmp_le_u32_e32 vcc_lo, s20, v5
	v_cndmask_b32_e32 v7, v7, v9, vcc_lo
	s_delay_alu instid0(VALU_DEP_1) | instskip(NEXT) | instid1(VALU_DEP_1)
	v_dual_cndmask_b32 v5, v5, v8 :: v_dual_add_nc_u32 v8, 1, v7
	v_cmp_le_u32_e32 vcc_lo, s20, v5
	s_delay_alu instid0(VALU_DEP_2) | instskip(NEXT) | instid1(VALU_DEP_1)
	v_cndmask_b32_e32 v5, v7, v8, vcc_lo
	v_xor_b32_e32 v5, v5, v6
	s_delay_alu instid0(VALU_DEP_1) | instskip(NEXT) | instid1(VALU_DEP_1)
	v_sub_nc_u32_e32 v6, v5, v6
	v_mul_lo_u32 v5, v6, s10
	v_mad_u64_u32 v[7:8], null, s25, v6, v[3:4]
	v_mad_u64_u32 v[9:10], null, s23, v6, v[2:3]
	v_add_nc_u32_e32 v3, s21, v3
	v_add_nc_u32_e32 v2, s24, v2
	v_ashrrev_i32_e32 v6, 31, v5
	v_ashrrev_i32_e32 v8, 31, v7
	;; [unrolled: 1-line block ×3, first 2 shown]
	s_delay_alu instid0(VALU_DEP_3) | instskip(NEXT) | instid1(VALU_DEP_3)
	v_lshlrev_b64 v[5:6], 2, v[5:6]
	v_lshlrev_b64 v[7:8], 2, v[7:8]
	s_delay_alu instid0(VALU_DEP_3) | instskip(NEXT) | instid1(VALU_DEP_3)
	v_lshlrev_b64 v[9:10], 2, v[9:10]
	v_add_co_u32 v11, vcc_lo, s4, v5
	s_delay_alu instid0(VALU_DEP_4) | instskip(NEXT) | instid1(VALU_DEP_4)
	v_add_co_ci_u32_e32 v12, vcc_lo, s5, v6, vcc_lo
	v_add_co_u32 v5, vcc_lo, s11, v7
	v_add_co_ci_u32_e32 v6, vcc_lo, s14, v8, vcc_lo
	v_add_co_u32 v7, vcc_lo, s15, v7
	;; [unrolled: 2-line block ×3, first 2 shown]
	v_add_co_ci_u32_e32 v10, vcc_lo, v12, v10, vcc_lo
	global_load_b32 v11, v[5:6], off
	global_load_b32 v8, v[7:8], off
	global_load_b64 v[5:6], v[9:10], off
	v_cmp_le_i32_e32 vcc_lo, s8, v3
	s_or_b32 s19, vcc_lo, s19
	s_waitcnt vmcnt(0)
	v_mul_f32_e32 v12, v8, v6
	v_mul_f32_e32 v7, v11, v6
	s_delay_alu instid0(VALU_DEP_2) | instskip(NEXT) | instid1(VALU_DEP_2)
	v_fma_f32 v6, v11, v5, -v12
	v_fmac_f32_e32 v7, v8, v5
	global_store_b64 v[9:10], v[6:7], off
	s_and_not1_b32 exec_lo, exec_lo, s19
	s_cbranch_execnz .LBB16_2
.LBB16_3:
	s_or_b32 exec_lo, exec_lo, s18
	s_mul_i32 s4, s17, s9
	s_mov_b32 s5, exec_lo
	v_cmpx_gt_i32_e64 s4, v0
	s_cbranch_execz .LBB16_6
; %bb.4:
	s_mul_i32 s5, s2, s7
	s_mul_hi_u32 s7, s2, s6
	s_mul_i32 s3, s3, s6
	s_add_i32 s5, s7, s5
	s_mul_i32 s2, s2, s6
	s_add_i32 s3, s5, s3
	s_load_b32 s0, s[0:1], 0x64
	s_lshl_b64 s[2:3], s[2:3], 2
	s_mov_b32 s6, 0
	s_add_u32 s2, s12, s2
	s_addc_u32 s3, s13, s3
	s_abs_i32 s5, s17
	s_lshl_b32 s7, s17, 1
	v_cvt_f32_u32_e32 v2, s5
	s_sub_i32 s1, 0, s5
	s_sub_i32 s7, 0, s7
	;; [unrolled: 1-line block ×3, first 2 shown]
	s_delay_alu instid0(VALU_DEP_1)
	v_rcp_iflag_f32_e32 v2, v2
	s_waitcnt lgkmcnt(0)
	s_and_b32 s0, s0, 0xffff
	s_waitcnt_depctr 0xfff
	v_mul_f32_e32 v2, 0x4f7ffffe, v2
	s_lshl_b32 s8, s0, 1
	s_delay_alu instid0(VALU_DEP_1) | instskip(NEXT) | instid1(VALU_DEP_1)
	v_cvt_u32_f32_e32 v2, v2
	v_mul_lo_u32 v3, s1, v2
	s_ashr_i32 s1, s17, 31
	s_delay_alu instid0(VALU_DEP_1) | instskip(NEXT) | instid1(VALU_DEP_1)
	v_mul_hi_u32 v3, v2, v3
	v_add_nc_u32_e32 v2, v2, v3
.LBB16_5:                               ; =>This Inner Loop Header: Depth=1
	v_sub_nc_u32_e32 v3, 0, v0
	v_ashrrev_i32_e32 v4, 31, v0
	s_delay_alu instid0(VALU_DEP_2) | instskip(NEXT) | instid1(VALU_DEP_2)
	v_max_i32_e32 v3, v0, v3
	v_xor_b32_e32 v4, s1, v4
	s_delay_alu instid0(VALU_DEP_2) | instskip(NEXT) | instid1(VALU_DEP_1)
	v_mul_hi_u32 v5, v3, v2
	v_mul_lo_u32 v6, v5, s5
	v_add_nc_u32_e32 v7, 1, v5
	s_delay_alu instid0(VALU_DEP_2) | instskip(NEXT) | instid1(VALU_DEP_1)
	v_sub_nc_u32_e32 v3, v3, v6
	v_subrev_nc_u32_e32 v6, s5, v3
	v_cmp_le_u32_e32 vcc_lo, s5, v3
	s_delay_alu instid0(VALU_DEP_4) | instskip(NEXT) | instid1(VALU_DEP_1)
	v_cndmask_b32_e32 v5, v5, v7, vcc_lo
	v_dual_cndmask_b32 v3, v3, v6 :: v_dual_add_nc_u32 v6, 1, v5
	s_delay_alu instid0(VALU_DEP_1) | instskip(NEXT) | instid1(VALU_DEP_2)
	v_cmp_le_u32_e32 vcc_lo, s5, v3
	v_cndmask_b32_e32 v3, v5, v6, vcc_lo
	s_delay_alu instid0(VALU_DEP_1) | instskip(NEXT) | instid1(VALU_DEP_1)
	v_xor_b32_e32 v3, v3, v4
	v_sub_nc_u32_e32 v4, v3, v4
	s_delay_alu instid0(VALU_DEP_1)
	v_mul_lo_u32 v3, v4, s10
	v_mad_u64_u32 v[5:6], null, s9, v4, v[0:1]
	v_mad_u64_u32 v[7:8], null, s7, v4, v[1:2]
	v_add_nc_u32_e32 v0, s0, v0
	v_add_nc_u32_e32 v1, s8, v1
	v_ashrrev_i32_e32 v4, 31, v3
	v_ashrrev_i32_e32 v6, 31, v5
	;; [unrolled: 1-line block ×3, first 2 shown]
	s_delay_alu instid0(VALU_DEP_3) | instskip(NEXT) | instid1(VALU_DEP_3)
	v_lshlrev_b64 v[3:4], 2, v[3:4]
	v_lshlrev_b64 v[5:6], 2, v[5:6]
	s_delay_alu instid0(VALU_DEP_3) | instskip(NEXT) | instid1(VALU_DEP_3)
	v_lshlrev_b64 v[7:8], 2, v[7:8]
	v_add_co_u32 v9, vcc_lo, s2, v3
	s_delay_alu instid0(VALU_DEP_4) | instskip(NEXT) | instid1(VALU_DEP_4)
	v_add_co_ci_u32_e32 v10, vcc_lo, s3, v4, vcc_lo
	v_add_co_u32 v3, vcc_lo, s11, v5
	v_add_co_ci_u32_e32 v4, vcc_lo, s14, v6, vcc_lo
	v_add_co_u32 v5, vcc_lo, s15, v5
	;; [unrolled: 2-line block ×3, first 2 shown]
	v_add_co_ci_u32_e32 v8, vcc_lo, v10, v8, vcc_lo
	global_load_b32 v9, v[3:4], off
	global_load_b32 v6, v[5:6], off
	global_load_b64 v[3:4], v[7:8], off
	v_cmp_le_i32_e32 vcc_lo, s4, v0
	s_or_b32 s6, vcc_lo, s6
	s_waitcnt vmcnt(0)
	v_mul_f32_e32 v10, v6, v4
	v_mul_f32_e32 v5, v9, v4
	s_delay_alu instid0(VALU_DEP_2) | instskip(NEXT) | instid1(VALU_DEP_2)
	v_fma_f32 v4, v9, v3, -v10
	v_fmac_f32_e32 v5, v6, v3
	global_store_b64 v[7:8], v[4:5], off
	s_and_not1_b32 exec_lo, exec_lo, s6
	s_cbranch_execnz .LBB16_5
.LBB16_6:
	s_nop 0
	s_sendmsg sendmsg(MSG_DEALLOC_VGPRS)
	s_endpgm
	.section	.rodata,"a",@progbits
	.p2align	6, 0x0
	.amdhsa_kernel _ZN4vllm31batched_rotary_embedding_kernelIfLb0ELb0EEEvPKlPT_S4_PKS3_S6_S2_illiii
		.amdhsa_group_segment_fixed_size 0
		.amdhsa_private_segment_fixed_size 0
		.amdhsa_kernarg_size 344
		.amdhsa_user_sgpr_count 15
		.amdhsa_user_sgpr_dispatch_ptr 0
		.amdhsa_user_sgpr_queue_ptr 0
		.amdhsa_user_sgpr_kernarg_segment_ptr 1
		.amdhsa_user_sgpr_dispatch_id 0
		.amdhsa_user_sgpr_private_segment_size 0
		.amdhsa_wavefront_size32 1
		.amdhsa_uses_dynamic_stack 0
		.amdhsa_enable_private_segment 0
		.amdhsa_system_sgpr_workgroup_id_x 1
		.amdhsa_system_sgpr_workgroup_id_y 0
		.amdhsa_system_sgpr_workgroup_id_z 0
		.amdhsa_system_sgpr_workgroup_info 0
		.amdhsa_system_vgpr_workitem_id 0
		.amdhsa_next_free_vgpr 13
		.amdhsa_next_free_sgpr 26
		.amdhsa_reserve_vcc 1
		.amdhsa_float_round_mode_32 0
		.amdhsa_float_round_mode_16_64 0
		.amdhsa_float_denorm_mode_32 3
		.amdhsa_float_denorm_mode_16_64 3
		.amdhsa_dx10_clamp 1
		.amdhsa_ieee_mode 1
		.amdhsa_fp16_overflow 0
		.amdhsa_workgroup_processor_mode 1
		.amdhsa_memory_ordered 1
		.amdhsa_forward_progress 0
		.amdhsa_shared_vgpr_count 0
		.amdhsa_exception_fp_ieee_invalid_op 0
		.amdhsa_exception_fp_denorm_src 0
		.amdhsa_exception_fp_ieee_div_zero 0
		.amdhsa_exception_fp_ieee_overflow 0
		.amdhsa_exception_fp_ieee_underflow 0
		.amdhsa_exception_fp_ieee_inexact 0
		.amdhsa_exception_int_div_zero 0
	.end_amdhsa_kernel
	.section	.text._ZN4vllm31batched_rotary_embedding_kernelIfLb0ELb0EEEvPKlPT_S4_PKS3_S6_S2_illiii,"axG",@progbits,_ZN4vllm31batched_rotary_embedding_kernelIfLb0ELb0EEEvPKlPT_S4_PKS3_S6_S2_illiii,comdat
.Lfunc_end16:
	.size	_ZN4vllm31batched_rotary_embedding_kernelIfLb0ELb0EEEvPKlPT_S4_PKS3_S6_S2_illiii, .Lfunc_end16-_ZN4vllm31batched_rotary_embedding_kernelIfLb0ELb0EEEvPKlPT_S4_PKS3_S6_S2_illiii
                                        ; -- End function
	.section	.AMDGPU.csdata,"",@progbits
; Kernel info:
; codeLenInByte = 1172
; NumSgprs: 28
; NumVgprs: 13
; ScratchSize: 0
; MemoryBound: 0
; FloatMode: 240
; IeeeMode: 1
; LDSByteSize: 0 bytes/workgroup (compile time only)
; SGPRBlocks: 3
; VGPRBlocks: 1
; NumSGPRsForWavesPerEU: 28
; NumVGPRsForWavesPerEU: 13
; Occupancy: 16
; WaveLimiterHint : 1
; COMPUTE_PGM_RSRC2:SCRATCH_EN: 0
; COMPUTE_PGM_RSRC2:USER_SGPR: 15
; COMPUTE_PGM_RSRC2:TRAP_HANDLER: 0
; COMPUTE_PGM_RSRC2:TGID_X_EN: 1
; COMPUTE_PGM_RSRC2:TGID_Y_EN: 0
; COMPUTE_PGM_RSRC2:TGID_Z_EN: 0
; COMPUTE_PGM_RSRC2:TIDIG_COMP_CNT: 0
	.section	.text._ZN4vllm31batched_rotary_embedding_kernelIN3c104HalfELb1ELb1EEEvPKlPT_S6_PKS5_S8_S4_illiii,"axG",@progbits,_ZN4vllm31batched_rotary_embedding_kernelIN3c104HalfELb1ELb1EEEvPKlPT_S6_PKS5_S8_S4_illiii,comdat
	.protected	_ZN4vllm31batched_rotary_embedding_kernelIN3c104HalfELb1ELb1EEEvPKlPT_S6_PKS5_S8_S4_illiii ; -- Begin function _ZN4vllm31batched_rotary_embedding_kernelIN3c104HalfELb1ELb1EEEvPKlPT_S6_PKS5_S8_S4_illiii
	.globl	_ZN4vllm31batched_rotary_embedding_kernelIN3c104HalfELb1ELb1EEEvPKlPT_S6_PKS5_S8_S4_illiii
	.p2align	8
	.type	_ZN4vllm31batched_rotary_embedding_kernelIN3c104HalfELb1ELb1EEEvPKlPT_S6_PKS5_S8_S4_illiii,@function
_ZN4vllm31batched_rotary_embedding_kernelIN3c104HalfELb1ELb1EEEvPKlPT_S6_PKS5_S8_S4_illiii: ; @_ZN4vllm31batched_rotary_embedding_kernelIN3c104HalfELb1ELb1EEEvPKlPT_S6_PKS5_S8_S4_illiii
; %bb.0:
	s_mov_b32 s20, s15
	s_clause 0x2
	s_load_b32 s22, s[0:1], 0x30
	s_load_b64 s[2:3], s[0:1], 0x0
	s_load_b256 s[12:19], s[0:1], 0x10
	s_ashr_i32 s21, s20, 31
	s_delay_alu instid0(SALU_CYCLE_1)
	s_lshl_b64 s[4:5], s[20:21], 3
	s_waitcnt lgkmcnt(0)
	s_ashr_i32 s23, s22, 31
	s_add_u32 s2, s2, s4
	s_addc_u32 s3, s3, s5
	s_add_u32 s4, s18, s4
	s_addc_u32 s5, s19, s5
	s_load_b64 s[2:3], s[2:3], 0x0
	s_load_b64 s[18:19], s[4:5], 0x0
	s_load_b256 s[4:11], s[0:1], 0x38
	s_waitcnt lgkmcnt(0)
	s_add_u32 s2, s18, s2
	s_addc_u32 s3, s19, s3
	s_mul_i32 s11, s2, s23
	s_mul_hi_u32 s18, s2, s22
	s_mul_i32 s3, s3, s22
	s_add_i32 s11, s18, s11
	s_mul_i32 s2, s2, s22
	s_add_i32 s11, s11, s3
	s_mov_b32 s19, 0
	s_lshr_b32 s3, s11, 31
	s_delay_alu instid0(SALU_CYCLE_1) | instskip(SKIP_2) | instid1(SALU_CYCLE_1)
	s_add_u32 s2, s2, s3
	s_addc_u32 s3, s11, 0
	s_and_b32 s2, s2, -2
	s_add_u32 s11, s14, s2
	s_addc_u32 s18, s15, s3
	s_add_u32 s16, s16, s2
	s_addc_u32 s17, s17, s3
	s_lshr_b32 s2, s22, 31
	s_sub_i32 s14, s10, s22
	s_add_i32 s2, s22, s2
	s_ashr_i32 s15, s14, 31
	s_ashr_i32 s2, s2, 1
	s_mov_b32 s22, exec_lo
	s_mul_i32 s8, s2, s8
	s_delay_alu instid0(SALU_CYCLE_1)
	v_cmpx_gt_i32_e64 s8, v0
	s_cbranch_execz .LBB17_3
; %bb.1:
	s_clause 0x1
	s_load_b64 s[24:25], s[0:1], 0x8
	s_load_b32 s28, s[0:1], 0x64
	s_lshl_b64 s[26:27], s[14:15], 1
	s_mul_i32 s3, s20, s5
	s_mul_hi_u32 s5, s20, s4
	s_mul_i32 s23, s21, s4
	s_mul_i32 s4, s20, s4
	s_waitcnt lgkmcnt(0)
	s_add_u32 s24, s24, s26
	s_addc_u32 s25, s25, s27
	s_add_i32 s3, s5, s3
	s_delay_alu instid0(SALU_CYCLE_1) | instskip(NEXT) | instid1(SALU_CYCLE_1)
	s_add_i32 s5, s3, s23
	s_lshl_b64 s[4:5], s[4:5], 1
	s_delay_alu instid0(SALU_CYCLE_1)
	s_add_u32 s23, s24, s4
	s_addc_u32 s24, s25, s5
	s_abs_i32 s25, s2
	s_and_b32 s26, s28, 0xffff
	v_cvt_f32_u32_e32 v1, s25
	s_sub_i32 s3, 0, s25
	s_sub_i32 s27, 0, s2
	s_delay_alu instid0(VALU_DEP_1) | instskip(SKIP_2) | instid1(VALU_DEP_1)
	v_rcp_iflag_f32_e32 v1, v1
	s_waitcnt_depctr 0xfff
	v_mul_f32_e32 v1, 0x4f7ffffe, v1
	v_cvt_u32_f32_e32 v1, v1
	s_delay_alu instid0(VALU_DEP_1) | instskip(SKIP_1) | instid1(SALU_CYCLE_1)
	v_mul_lo_u32 v2, s3, v1
	s_ashr_i32 s3, s2, 31
	s_lshl_b64 s[4:5], s[2:3], 1
	s_delay_alu instid0(VALU_DEP_1) | instskip(NEXT) | instid1(VALU_DEP_1)
	v_mul_hi_u32 v2, v1, v2
	v_dual_mov_b32 v1, v0 :: v_dual_add_nc_u32 v2, v1, v2
.LBB17_2:                               ; =>This Inner Loop Header: Depth=1
	s_delay_alu instid0(VALU_DEP_1) | instskip(SKIP_1) | instid1(VALU_DEP_2)
	v_sub_nc_u32_e32 v3, 0, v1
	v_ashrrev_i32_e32 v4, 31, v1
	v_max_i32_e32 v3, v1, v3
	s_delay_alu instid0(VALU_DEP_2) | instskip(NEXT) | instid1(VALU_DEP_2)
	v_xor_b32_e32 v4, s3, v4
	v_mul_hi_u32 v5, v3, v2
	s_delay_alu instid0(VALU_DEP_1) | instskip(SKIP_1) | instid1(VALU_DEP_2)
	v_mul_lo_u32 v6, v5, s25
	v_add_nc_u32_e32 v7, 1, v5
	v_sub_nc_u32_e32 v3, v3, v6
	s_delay_alu instid0(VALU_DEP_1) | instskip(SKIP_1) | instid1(VALU_DEP_4)
	v_subrev_nc_u32_e32 v6, s25, v3
	v_cmp_le_u32_e32 vcc_lo, s25, v3
	v_cndmask_b32_e32 v5, v5, v7, vcc_lo
	s_delay_alu instid0(VALU_DEP_1) | instskip(NEXT) | instid1(VALU_DEP_1)
	v_dual_cndmask_b32 v3, v3, v6 :: v_dual_add_nc_u32 v6, 1, v5
	v_cmp_le_u32_e32 vcc_lo, s25, v3
	s_delay_alu instid0(VALU_DEP_2) | instskip(NEXT) | instid1(VALU_DEP_1)
	v_cndmask_b32_e32 v3, v5, v6, vcc_lo
	v_xor_b32_e32 v3, v3, v4
	s_delay_alu instid0(VALU_DEP_1) | instskip(NEXT) | instid1(VALU_DEP_1)
	v_sub_nc_u32_e32 v4, v3, v4
	v_mul_lo_u32 v3, v4, s10
	v_mad_u64_u32 v[5:6], null, s27, v4, v[1:2]
	v_add_nc_u32_e32 v1, s26, v1
	s_delay_alu instid0(VALU_DEP_3) | instskip(NEXT) | instid1(VALU_DEP_3)
	v_ashrrev_i32_e32 v4, 31, v3
	v_ashrrev_i32_e32 v6, 31, v5
	s_delay_alu instid0(VALU_DEP_2) | instskip(NEXT) | instid1(VALU_DEP_2)
	v_lshlrev_b64 v[3:4], 1, v[3:4]
	v_lshlrev_b64 v[5:6], 1, v[5:6]
	s_delay_alu instid0(VALU_DEP_2) | instskip(NEXT) | instid1(VALU_DEP_3)
	v_add_co_u32 v9, vcc_lo, s23, v3
	v_add_co_ci_u32_e32 v10, vcc_lo, s24, v4, vcc_lo
	s_delay_alu instid0(VALU_DEP_3) | instskip(NEXT) | instid1(VALU_DEP_4)
	v_add_co_u32 v3, vcc_lo, s11, v5
	v_add_co_ci_u32_e32 v4, vcc_lo, s18, v6, vcc_lo
	v_add_co_u32 v7, vcc_lo, s16, v5
	v_add_co_ci_u32_e32 v8, vcc_lo, s17, v6, vcc_lo
	;; [unrolled: 2-line block ×3, first 2 shown]
	s_delay_alu instid0(VALU_DEP_2) | instskip(NEXT) | instid1(VALU_DEP_2)
	v_add_co_u32 v9, vcc_lo, v5, s4
	v_add_co_ci_u32_e32 v10, vcc_lo, s5, v6, vcc_lo
	global_load_u16 v3, v[3:4], off
	global_load_u16 v4, v[7:8], off
	s_clause 0x1
	global_load_u16 v7, v[5:6], off
	global_load_u16 v8, v[9:10], off
	v_cmp_le_i32_e32 vcc_lo, s8, v1
	s_or_b32 s19, vcc_lo, s19
	s_waitcnt vmcnt(0)
	v_mul_f16_e32 v11, v4, v8
	v_mul_f16_e32 v8, v3, v8
	s_delay_alu instid0(VALU_DEP_2) | instskip(NEXT) | instid1(VALU_DEP_2)
	v_fma_f16 v3, v3, v7, -v11
	v_fmac_f16_e32 v8, v4, v7
	s_clause 0x1
	global_store_b16 v[5:6], v3, off
	global_store_b16 v[9:10], v8, off
	s_and_not1_b32 exec_lo, exec_lo, s19
	s_cbranch_execnz .LBB17_2
.LBB17_3:
	s_or_b32 exec_lo, exec_lo, s22
	s_mul_i32 s4, s2, s9
	s_mov_b32 s3, exec_lo
	v_cmpx_gt_i32_e64 s4, v0
	s_cbranch_execz .LBB17_6
; %bb.4:
	s_lshl_b64 s[8:9], s[14:15], 1
	s_mul_i32 s3, s20, s7
	s_mul_hi_u32 s7, s20, s6
	s_add_u32 s5, s12, s8
	s_addc_u32 s8, s13, s9
	s_add_i32 s3, s7, s3
	s_mul_i32 s7, s21, s6
	s_mul_i32 s6, s20, s6
	s_add_i32 s7, s3, s7
	s_load_b32 s0, s[0:1], 0x64
	s_lshl_b64 s[6:7], s[6:7], 1
	s_mov_b32 s9, 0
	s_add_u32 s5, s5, s6
	s_addc_u32 s6, s8, s7
	s_abs_i32 s7, s2
	s_ashr_i32 s3, s2, 31
	v_cvt_f32_u32_e32 v1, s7
	s_sub_i32 s1, 0, s7
	s_sub_i32 s12, 0, s2
	s_delay_alu instid0(VALU_DEP_1) | instskip(SKIP_4) | instid1(VALU_DEP_1)
	v_rcp_iflag_f32_e32 v1, v1
	s_waitcnt lgkmcnt(0)
	s_and_b32 s8, s0, 0xffff
	s_waitcnt_depctr 0xfff
	v_mul_f32_e32 v1, 0x4f7ffffe, v1
	v_cvt_u32_f32_e32 v1, v1
	s_delay_alu instid0(VALU_DEP_1) | instskip(SKIP_1) | instid1(VALU_DEP_1)
	v_mul_lo_u32 v2, s1, v1
	s_lshl_b64 s[0:1], s[2:3], 1
	v_mul_hi_u32 v2, v1, v2
	s_delay_alu instid0(VALU_DEP_1)
	v_add_nc_u32_e32 v1, v1, v2
.LBB17_5:                               ; =>This Inner Loop Header: Depth=1
	v_sub_nc_u32_e32 v2, 0, v0
	v_ashrrev_i32_e32 v3, 31, v0
	s_delay_alu instid0(VALU_DEP_2) | instskip(NEXT) | instid1(VALU_DEP_2)
	v_max_i32_e32 v2, v0, v2
	v_xor_b32_e32 v3, s3, v3
	s_delay_alu instid0(VALU_DEP_2) | instskip(NEXT) | instid1(VALU_DEP_1)
	v_mul_hi_u32 v4, v2, v1
	v_mul_lo_u32 v5, v4, s7
	v_add_nc_u32_e32 v6, 1, v4
	s_delay_alu instid0(VALU_DEP_2) | instskip(NEXT) | instid1(VALU_DEP_1)
	v_sub_nc_u32_e32 v2, v2, v5
	v_subrev_nc_u32_e32 v5, s7, v2
	v_cmp_le_u32_e32 vcc_lo, s7, v2
	s_delay_alu instid0(VALU_DEP_4) | instskip(NEXT) | instid1(VALU_DEP_1)
	v_cndmask_b32_e32 v4, v4, v6, vcc_lo
	v_dual_cndmask_b32 v2, v2, v5 :: v_dual_add_nc_u32 v5, 1, v4
	s_delay_alu instid0(VALU_DEP_1) | instskip(NEXT) | instid1(VALU_DEP_2)
	v_cmp_le_u32_e32 vcc_lo, s7, v2
	v_cndmask_b32_e32 v2, v4, v5, vcc_lo
	s_delay_alu instid0(VALU_DEP_1) | instskip(NEXT) | instid1(VALU_DEP_1)
	v_xor_b32_e32 v2, v2, v3
	v_sub_nc_u32_e32 v3, v2, v3
	s_delay_alu instid0(VALU_DEP_1) | instskip(SKIP_2) | instid1(VALU_DEP_3)
	v_mul_lo_u32 v2, v3, s10
	v_mad_u64_u32 v[4:5], null, s12, v3, v[0:1]
	v_add_nc_u32_e32 v0, s8, v0
	v_ashrrev_i32_e32 v3, 31, v2
	s_delay_alu instid0(VALU_DEP_3) | instskip(NEXT) | instid1(VALU_DEP_2)
	v_ashrrev_i32_e32 v5, 31, v4
	v_lshlrev_b64 v[2:3], 1, v[2:3]
	s_delay_alu instid0(VALU_DEP_2) | instskip(NEXT) | instid1(VALU_DEP_2)
	v_lshlrev_b64 v[4:5], 1, v[4:5]
	v_add_co_u32 v8, vcc_lo, s5, v2
	s_delay_alu instid0(VALU_DEP_3) | instskip(NEXT) | instid1(VALU_DEP_3)
	v_add_co_ci_u32_e32 v9, vcc_lo, s6, v3, vcc_lo
	v_add_co_u32 v2, vcc_lo, s11, v4
	s_delay_alu instid0(VALU_DEP_4) | instskip(SKIP_4) | instid1(VALU_DEP_2)
	v_add_co_ci_u32_e32 v3, vcc_lo, s18, v5, vcc_lo
	v_add_co_u32 v6, vcc_lo, s16, v4
	v_add_co_ci_u32_e32 v7, vcc_lo, s17, v5, vcc_lo
	v_add_co_u32 v4, vcc_lo, v8, v4
	;; [unrolled: 2-line block ×3, first 2 shown]
	s_delay_alu instid0(VALU_DEP_2)
	v_add_co_ci_u32_e32 v9, vcc_lo, s1, v5, vcc_lo
	global_load_u16 v2, v[2:3], off
	global_load_u16 v3, v[6:7], off
	s_clause 0x1
	global_load_u16 v6, v[4:5], off
	global_load_u16 v7, v[8:9], off
	v_cmp_le_i32_e32 vcc_lo, s4, v0
	s_or_b32 s9, vcc_lo, s9
	s_waitcnt vmcnt(0)
	v_mul_f16_e32 v10, v3, v7
	v_mul_f16_e32 v7, v2, v7
	s_delay_alu instid0(VALU_DEP_2) | instskip(NEXT) | instid1(VALU_DEP_2)
	v_fma_f16 v2, v2, v6, -v10
	v_fmac_f16_e32 v7, v3, v6
	s_clause 0x1
	global_store_b16 v[4:5], v2, off
	global_store_b16 v[8:9], v7, off
	s_and_not1_b32 exec_lo, exec_lo, s9
	s_cbranch_execnz .LBB17_5
.LBB17_6:
	s_nop 0
	s_sendmsg sendmsg(MSG_DEALLOC_VGPRS)
	s_endpgm
	.section	.rodata,"a",@progbits
	.p2align	6, 0x0
	.amdhsa_kernel _ZN4vllm31batched_rotary_embedding_kernelIN3c104HalfELb1ELb1EEEvPKlPT_S6_PKS5_S8_S4_illiii
		.amdhsa_group_segment_fixed_size 0
		.amdhsa_private_segment_fixed_size 0
		.amdhsa_kernarg_size 344
		.amdhsa_user_sgpr_count 15
		.amdhsa_user_sgpr_dispatch_ptr 0
		.amdhsa_user_sgpr_queue_ptr 0
		.amdhsa_user_sgpr_kernarg_segment_ptr 1
		.amdhsa_user_sgpr_dispatch_id 0
		.amdhsa_user_sgpr_private_segment_size 0
		.amdhsa_wavefront_size32 1
		.amdhsa_uses_dynamic_stack 0
		.amdhsa_enable_private_segment 0
		.amdhsa_system_sgpr_workgroup_id_x 1
		.amdhsa_system_sgpr_workgroup_id_y 0
		.amdhsa_system_sgpr_workgroup_id_z 0
		.amdhsa_system_sgpr_workgroup_info 0
		.amdhsa_system_vgpr_workitem_id 0
		.amdhsa_next_free_vgpr 12
		.amdhsa_next_free_sgpr 29
		.amdhsa_reserve_vcc 1
		.amdhsa_float_round_mode_32 0
		.amdhsa_float_round_mode_16_64 0
		.amdhsa_float_denorm_mode_32 3
		.amdhsa_float_denorm_mode_16_64 3
		.amdhsa_dx10_clamp 1
		.amdhsa_ieee_mode 1
		.amdhsa_fp16_overflow 0
		.amdhsa_workgroup_processor_mode 1
		.amdhsa_memory_ordered 1
		.amdhsa_forward_progress 0
		.amdhsa_shared_vgpr_count 0
		.amdhsa_exception_fp_ieee_invalid_op 0
		.amdhsa_exception_fp_denorm_src 0
		.amdhsa_exception_fp_ieee_div_zero 0
		.amdhsa_exception_fp_ieee_overflow 0
		.amdhsa_exception_fp_ieee_underflow 0
		.amdhsa_exception_fp_ieee_inexact 0
		.amdhsa_exception_int_div_zero 0
	.end_amdhsa_kernel
	.section	.text._ZN4vllm31batched_rotary_embedding_kernelIN3c104HalfELb1ELb1EEEvPKlPT_S6_PKS5_S8_S4_illiii,"axG",@progbits,_ZN4vllm31batched_rotary_embedding_kernelIN3c104HalfELb1ELb1EEEvPKlPT_S6_PKS5_S8_S4_illiii,comdat
.Lfunc_end17:
	.size	_ZN4vllm31batched_rotary_embedding_kernelIN3c104HalfELb1ELb1EEEvPKlPT_S6_PKS5_S8_S4_illiii, .Lfunc_end17-_ZN4vllm31batched_rotary_embedding_kernelIN3c104HalfELb1ELb1EEEvPKlPT_S6_PKS5_S8_S4_illiii
                                        ; -- End function
	.section	.AMDGPU.csdata,"",@progbits
; Kernel info:
; codeLenInByte = 1220
; NumSgprs: 31
; NumVgprs: 12
; ScratchSize: 0
; MemoryBound: 0
; FloatMode: 240
; IeeeMode: 1
; LDSByteSize: 0 bytes/workgroup (compile time only)
; SGPRBlocks: 3
; VGPRBlocks: 1
; NumSGPRsForWavesPerEU: 31
; NumVGPRsForWavesPerEU: 12
; Occupancy: 16
; WaveLimiterHint : 1
; COMPUTE_PGM_RSRC2:SCRATCH_EN: 0
; COMPUTE_PGM_RSRC2:USER_SGPR: 15
; COMPUTE_PGM_RSRC2:TRAP_HANDLER: 0
; COMPUTE_PGM_RSRC2:TGID_X_EN: 1
; COMPUTE_PGM_RSRC2:TGID_Y_EN: 0
; COMPUTE_PGM_RSRC2:TGID_Z_EN: 0
; COMPUTE_PGM_RSRC2:TIDIG_COMP_CNT: 0
	.section	.text._ZN4vllm31batched_rotary_embedding_kernelIN3c104HalfELb1ELb0EEEvPKlPT_S6_PKS5_S8_S4_illiii,"axG",@progbits,_ZN4vllm31batched_rotary_embedding_kernelIN3c104HalfELb1ELb0EEEvPKlPT_S6_PKS5_S8_S4_illiii,comdat
	.protected	_ZN4vllm31batched_rotary_embedding_kernelIN3c104HalfELb1ELb0EEEvPKlPT_S6_PKS5_S8_S4_illiii ; -- Begin function _ZN4vllm31batched_rotary_embedding_kernelIN3c104HalfELb1ELb0EEEvPKlPT_S6_PKS5_S8_S4_illiii
	.globl	_ZN4vllm31batched_rotary_embedding_kernelIN3c104HalfELb1ELb0EEEvPKlPT_S6_PKS5_S8_S4_illiii
	.p2align	8
	.type	_ZN4vllm31batched_rotary_embedding_kernelIN3c104HalfELb1ELb0EEEvPKlPT_S6_PKS5_S8_S4_illiii,@function
_ZN4vllm31batched_rotary_embedding_kernelIN3c104HalfELb1ELb0EEEvPKlPT_S6_PKS5_S8_S4_illiii: ; @_ZN4vllm31batched_rotary_embedding_kernelIN3c104HalfELb1ELb0EEEvPKlPT_S6_PKS5_S8_S4_illiii
; %bb.0:
	s_mov_b32 s20, s15
	s_clause 0x2
	s_load_b32 s22, s[0:1], 0x30
	s_load_b64 s[2:3], s[0:1], 0x0
	s_load_b256 s[12:19], s[0:1], 0x10
	s_ashr_i32 s21, s20, 31
	s_delay_alu instid0(SALU_CYCLE_1)
	s_lshl_b64 s[4:5], s[20:21], 3
	s_waitcnt lgkmcnt(0)
	s_ashr_i32 s23, s22, 31
	s_add_u32 s2, s2, s4
	s_addc_u32 s3, s3, s5
	s_add_u32 s4, s18, s4
	s_addc_u32 s5, s19, s5
	s_load_b64 s[2:3], s[2:3], 0x0
	s_load_b64 s[18:19], s[4:5], 0x0
	s_load_b256 s[4:11], s[0:1], 0x38
	s_waitcnt lgkmcnt(0)
	s_add_u32 s2, s18, s2
	s_addc_u32 s3, s19, s3
	s_mul_i32 s11, s2, s23
	s_mul_hi_u32 s18, s2, s22
	s_mul_i32 s3, s3, s22
	s_add_i32 s11, s18, s11
	s_mul_i32 s2, s2, s22
	s_add_i32 s11, s11, s3
	s_mov_b32 s18, 0
	s_lshr_b32 s3, s11, 31
	s_delay_alu instid0(SALU_CYCLE_1) | instskip(SKIP_2) | instid1(SALU_CYCLE_1)
	s_add_u32 s2, s2, s3
	s_addc_u32 s3, s11, 0
	s_and_b32 s2, s2, -2
	s_add_u32 s11, s14, s2
	s_addc_u32 s14, s15, s3
	s_add_u32 s15, s16, s2
	s_addc_u32 s16, s17, s3
	s_lshr_b32 s2, s22, 31
	s_mov_b32 s17, exec_lo
	s_add_i32 s22, s22, s2
	s_delay_alu instid0(SALU_CYCLE_1) | instskip(NEXT) | instid1(SALU_CYCLE_1)
	s_ashr_i32 s2, s22, 1
	s_mul_i32 s8, s2, s8
	s_delay_alu instid0(SALU_CYCLE_1)
	v_cmpx_gt_i32_e64 s8, v0
	s_cbranch_execz .LBB18_3
; %bb.1:
	s_load_b64 s[22:23], s[0:1], 0x8
	s_mul_i32 s3, s20, s5
	s_mul_hi_u32 s5, s20, s4
	s_mul_i32 s19, s21, s4
	s_add_i32 s3, s5, s3
	s_mul_i32 s4, s20, s4
	s_add_i32 s5, s3, s19
	s_load_b32 s3, s[0:1], 0x64
	s_lshl_b64 s[4:5], s[4:5], 1
	s_waitcnt lgkmcnt(0)
	s_add_u32 s19, s22, s4
	s_addc_u32 s22, s23, s5
	s_abs_i32 s23, s2
	s_sub_i32 s25, 0, s2
	v_cvt_f32_u32_e32 v1, s23
	s_sub_i32 s4, 0, s23
	s_and_b32 s24, s3, 0xffff
	s_ashr_i32 s3, s2, 31
	s_delay_alu instid0(VALU_DEP_1) | instskip(SKIP_2) | instid1(VALU_DEP_1)
	v_rcp_iflag_f32_e32 v1, v1
	s_waitcnt_depctr 0xfff
	v_mul_f32_e32 v1, 0x4f7ffffe, v1
	v_cvt_u32_f32_e32 v1, v1
	s_delay_alu instid0(VALU_DEP_1) | instskip(SKIP_1) | instid1(VALU_DEP_1)
	v_mul_lo_u32 v2, s4, v1
	s_lshl_b64 s[4:5], s[2:3], 1
	v_mul_hi_u32 v2, v1, v2
	s_delay_alu instid0(VALU_DEP_1)
	v_dual_mov_b32 v1, v0 :: v_dual_add_nc_u32 v2, v1, v2
.LBB18_2:                               ; =>This Inner Loop Header: Depth=1
	s_delay_alu instid0(VALU_DEP_1) | instskip(SKIP_1) | instid1(VALU_DEP_2)
	v_sub_nc_u32_e32 v3, 0, v1
	v_ashrrev_i32_e32 v4, 31, v1
	v_max_i32_e32 v3, v1, v3
	s_delay_alu instid0(VALU_DEP_2) | instskip(NEXT) | instid1(VALU_DEP_2)
	v_xor_b32_e32 v4, s3, v4
	v_mul_hi_u32 v5, v3, v2
	s_delay_alu instid0(VALU_DEP_1) | instskip(SKIP_1) | instid1(VALU_DEP_2)
	v_mul_lo_u32 v6, v5, s23
	v_add_nc_u32_e32 v7, 1, v5
	v_sub_nc_u32_e32 v3, v3, v6
	s_delay_alu instid0(VALU_DEP_1) | instskip(SKIP_1) | instid1(VALU_DEP_4)
	v_subrev_nc_u32_e32 v6, s23, v3
	v_cmp_le_u32_e32 vcc_lo, s23, v3
	v_cndmask_b32_e32 v5, v5, v7, vcc_lo
	s_delay_alu instid0(VALU_DEP_1) | instskip(NEXT) | instid1(VALU_DEP_1)
	v_dual_cndmask_b32 v3, v3, v6 :: v_dual_add_nc_u32 v6, 1, v5
	v_cmp_le_u32_e32 vcc_lo, s23, v3
	s_delay_alu instid0(VALU_DEP_2) | instskip(NEXT) | instid1(VALU_DEP_1)
	v_cndmask_b32_e32 v3, v5, v6, vcc_lo
	v_xor_b32_e32 v3, v3, v4
	s_delay_alu instid0(VALU_DEP_1) | instskip(NEXT) | instid1(VALU_DEP_1)
	v_sub_nc_u32_e32 v4, v3, v4
	v_mul_lo_u32 v3, v4, s10
	v_mad_u64_u32 v[5:6], null, s25, v4, v[1:2]
	v_add_nc_u32_e32 v1, s24, v1
	s_delay_alu instid0(VALU_DEP_3) | instskip(NEXT) | instid1(VALU_DEP_3)
	v_ashrrev_i32_e32 v4, 31, v3
	v_ashrrev_i32_e32 v6, 31, v5
	s_delay_alu instid0(VALU_DEP_2) | instskip(NEXT) | instid1(VALU_DEP_2)
	v_lshlrev_b64 v[3:4], 1, v[3:4]
	v_lshlrev_b64 v[5:6], 1, v[5:6]
	s_delay_alu instid0(VALU_DEP_2) | instskip(NEXT) | instid1(VALU_DEP_3)
	v_add_co_u32 v9, vcc_lo, s19, v3
	v_add_co_ci_u32_e32 v10, vcc_lo, s22, v4, vcc_lo
	s_delay_alu instid0(VALU_DEP_3) | instskip(NEXT) | instid1(VALU_DEP_4)
	v_add_co_u32 v3, vcc_lo, s11, v5
	v_add_co_ci_u32_e32 v4, vcc_lo, s14, v6, vcc_lo
	v_add_co_u32 v7, vcc_lo, s15, v5
	v_add_co_ci_u32_e32 v8, vcc_lo, s16, v6, vcc_lo
	;; [unrolled: 2-line block ×3, first 2 shown]
	s_delay_alu instid0(VALU_DEP_2) | instskip(NEXT) | instid1(VALU_DEP_2)
	v_add_co_u32 v9, vcc_lo, v5, s4
	v_add_co_ci_u32_e32 v10, vcc_lo, s5, v6, vcc_lo
	global_load_u16 v3, v[3:4], off
	global_load_u16 v4, v[7:8], off
	s_clause 0x1
	global_load_u16 v7, v[5:6], off
	global_load_u16 v8, v[9:10], off
	v_cmp_le_i32_e32 vcc_lo, s8, v1
	s_or_b32 s18, vcc_lo, s18
	s_waitcnt vmcnt(0)
	v_mul_f16_e32 v11, v4, v8
	v_mul_f16_e32 v8, v3, v8
	s_delay_alu instid0(VALU_DEP_2) | instskip(NEXT) | instid1(VALU_DEP_2)
	v_fma_f16 v3, v3, v7, -v11
	v_fmac_f16_e32 v8, v4, v7
	s_clause 0x1
	global_store_b16 v[5:6], v3, off
	global_store_b16 v[9:10], v8, off
	s_and_not1_b32 exec_lo, exec_lo, s18
	s_cbranch_execnz .LBB18_2
.LBB18_3:
	s_or_b32 exec_lo, exec_lo, s17
	s_mul_i32 s4, s2, s9
	s_mov_b32 s3, exec_lo
	v_cmpx_gt_i32_e64 s4, v0
	s_cbranch_execz .LBB18_6
; %bb.4:
	s_mul_i32 s3, s20, s7
	s_mul_hi_u32 s5, s20, s6
	s_load_b32 s0, s[0:1], 0x64
	s_add_i32 s3, s5, s3
	s_mul_i32 s5, s21, s6
	s_mul_i32 s6, s20, s6
	s_add_i32 s7, s3, s5
	s_mov_b32 s9, 0
	s_lshl_b64 s[6:7], s[6:7], 1
	s_delay_alu instid0(SALU_CYCLE_1)
	s_add_u32 s5, s12, s6
	s_addc_u32 s6, s13, s7
	s_abs_i32 s7, s2
	s_ashr_i32 s3, s2, 31
	v_cvt_f32_u32_e32 v1, s7
	s_sub_i32 s1, 0, s7
	s_sub_i32 s12, 0, s2
	s_delay_alu instid0(VALU_DEP_1) | instskip(SKIP_4) | instid1(VALU_DEP_1)
	v_rcp_iflag_f32_e32 v1, v1
	s_waitcnt lgkmcnt(0)
	s_and_b32 s8, s0, 0xffff
	s_waitcnt_depctr 0xfff
	v_mul_f32_e32 v1, 0x4f7ffffe, v1
	v_cvt_u32_f32_e32 v1, v1
	s_delay_alu instid0(VALU_DEP_1) | instskip(SKIP_1) | instid1(VALU_DEP_1)
	v_mul_lo_u32 v2, s1, v1
	s_lshl_b64 s[0:1], s[2:3], 1
	v_mul_hi_u32 v2, v1, v2
	s_delay_alu instid0(VALU_DEP_1)
	v_add_nc_u32_e32 v1, v1, v2
.LBB18_5:                               ; =>This Inner Loop Header: Depth=1
	v_sub_nc_u32_e32 v2, 0, v0
	v_ashrrev_i32_e32 v3, 31, v0
	s_delay_alu instid0(VALU_DEP_2) | instskip(NEXT) | instid1(VALU_DEP_2)
	v_max_i32_e32 v2, v0, v2
	v_xor_b32_e32 v3, s3, v3
	s_delay_alu instid0(VALU_DEP_2) | instskip(NEXT) | instid1(VALU_DEP_1)
	v_mul_hi_u32 v4, v2, v1
	v_mul_lo_u32 v5, v4, s7
	v_add_nc_u32_e32 v6, 1, v4
	s_delay_alu instid0(VALU_DEP_2) | instskip(NEXT) | instid1(VALU_DEP_1)
	v_sub_nc_u32_e32 v2, v2, v5
	v_subrev_nc_u32_e32 v5, s7, v2
	v_cmp_le_u32_e32 vcc_lo, s7, v2
	s_delay_alu instid0(VALU_DEP_4) | instskip(NEXT) | instid1(VALU_DEP_1)
	v_cndmask_b32_e32 v4, v4, v6, vcc_lo
	v_dual_cndmask_b32 v2, v2, v5 :: v_dual_add_nc_u32 v5, 1, v4
	s_delay_alu instid0(VALU_DEP_1) | instskip(NEXT) | instid1(VALU_DEP_2)
	v_cmp_le_u32_e32 vcc_lo, s7, v2
	v_cndmask_b32_e32 v2, v4, v5, vcc_lo
	s_delay_alu instid0(VALU_DEP_1) | instskip(NEXT) | instid1(VALU_DEP_1)
	v_xor_b32_e32 v2, v2, v3
	v_sub_nc_u32_e32 v3, v2, v3
	s_delay_alu instid0(VALU_DEP_1) | instskip(SKIP_2) | instid1(VALU_DEP_3)
	v_mul_lo_u32 v2, v3, s10
	v_mad_u64_u32 v[4:5], null, s12, v3, v[0:1]
	v_add_nc_u32_e32 v0, s8, v0
	v_ashrrev_i32_e32 v3, 31, v2
	s_delay_alu instid0(VALU_DEP_3) | instskip(NEXT) | instid1(VALU_DEP_2)
	v_ashrrev_i32_e32 v5, 31, v4
	v_lshlrev_b64 v[2:3], 1, v[2:3]
	s_delay_alu instid0(VALU_DEP_2) | instskip(NEXT) | instid1(VALU_DEP_2)
	v_lshlrev_b64 v[4:5], 1, v[4:5]
	v_add_co_u32 v8, vcc_lo, s5, v2
	s_delay_alu instid0(VALU_DEP_3) | instskip(NEXT) | instid1(VALU_DEP_3)
	v_add_co_ci_u32_e32 v9, vcc_lo, s6, v3, vcc_lo
	v_add_co_u32 v2, vcc_lo, s11, v4
	s_delay_alu instid0(VALU_DEP_4) | instskip(SKIP_4) | instid1(VALU_DEP_2)
	v_add_co_ci_u32_e32 v3, vcc_lo, s14, v5, vcc_lo
	v_add_co_u32 v6, vcc_lo, s15, v4
	v_add_co_ci_u32_e32 v7, vcc_lo, s16, v5, vcc_lo
	v_add_co_u32 v4, vcc_lo, v8, v4
	;; [unrolled: 2-line block ×3, first 2 shown]
	s_delay_alu instid0(VALU_DEP_2)
	v_add_co_ci_u32_e32 v9, vcc_lo, s1, v5, vcc_lo
	global_load_u16 v2, v[2:3], off
	global_load_u16 v3, v[6:7], off
	s_clause 0x1
	global_load_u16 v6, v[4:5], off
	global_load_u16 v7, v[8:9], off
	v_cmp_le_i32_e32 vcc_lo, s4, v0
	s_or_b32 s9, vcc_lo, s9
	s_waitcnt vmcnt(0)
	v_mul_f16_e32 v10, v3, v7
	v_mul_f16_e32 v7, v2, v7
	s_delay_alu instid0(VALU_DEP_2) | instskip(NEXT) | instid1(VALU_DEP_2)
	v_fma_f16 v2, v2, v6, -v10
	v_fmac_f16_e32 v7, v3, v6
	s_clause 0x1
	global_store_b16 v[4:5], v2, off
	global_store_b16 v[8:9], v7, off
	s_and_not1_b32 exec_lo, exec_lo, s9
	s_cbranch_execnz .LBB18_5
.LBB18_6:
	s_nop 0
	s_sendmsg sendmsg(MSG_DEALLOC_VGPRS)
	s_endpgm
	.section	.rodata,"a",@progbits
	.p2align	6, 0x0
	.amdhsa_kernel _ZN4vllm31batched_rotary_embedding_kernelIN3c104HalfELb1ELb0EEEvPKlPT_S6_PKS5_S8_S4_illiii
		.amdhsa_group_segment_fixed_size 0
		.amdhsa_private_segment_fixed_size 0
		.amdhsa_kernarg_size 344
		.amdhsa_user_sgpr_count 15
		.amdhsa_user_sgpr_dispatch_ptr 0
		.amdhsa_user_sgpr_queue_ptr 0
		.amdhsa_user_sgpr_kernarg_segment_ptr 1
		.amdhsa_user_sgpr_dispatch_id 0
		.amdhsa_user_sgpr_private_segment_size 0
		.amdhsa_wavefront_size32 1
		.amdhsa_uses_dynamic_stack 0
		.amdhsa_enable_private_segment 0
		.amdhsa_system_sgpr_workgroup_id_x 1
		.amdhsa_system_sgpr_workgroup_id_y 0
		.amdhsa_system_sgpr_workgroup_id_z 0
		.amdhsa_system_sgpr_workgroup_info 0
		.amdhsa_system_vgpr_workitem_id 0
		.amdhsa_next_free_vgpr 12
		.amdhsa_next_free_sgpr 26
		.amdhsa_reserve_vcc 1
		.amdhsa_float_round_mode_32 0
		.amdhsa_float_round_mode_16_64 0
		.amdhsa_float_denorm_mode_32 3
		.amdhsa_float_denorm_mode_16_64 3
		.amdhsa_dx10_clamp 1
		.amdhsa_ieee_mode 1
		.amdhsa_fp16_overflow 0
		.amdhsa_workgroup_processor_mode 1
		.amdhsa_memory_ordered 1
		.amdhsa_forward_progress 0
		.amdhsa_shared_vgpr_count 0
		.amdhsa_exception_fp_ieee_invalid_op 0
		.amdhsa_exception_fp_denorm_src 0
		.amdhsa_exception_fp_ieee_div_zero 0
		.amdhsa_exception_fp_ieee_overflow 0
		.amdhsa_exception_fp_ieee_underflow 0
		.amdhsa_exception_fp_ieee_inexact 0
		.amdhsa_exception_int_div_zero 0
	.end_amdhsa_kernel
	.section	.text._ZN4vllm31batched_rotary_embedding_kernelIN3c104HalfELb1ELb0EEEvPKlPT_S6_PKS5_S8_S4_illiii,"axG",@progbits,_ZN4vllm31batched_rotary_embedding_kernelIN3c104HalfELb1ELb0EEEvPKlPT_S6_PKS5_S8_S4_illiii,comdat
.Lfunc_end18:
	.size	_ZN4vllm31batched_rotary_embedding_kernelIN3c104HalfELb1ELb0EEEvPKlPT_S6_PKS5_S8_S4_illiii, .Lfunc_end18-_ZN4vllm31batched_rotary_embedding_kernelIN3c104HalfELb1ELb0EEEvPKlPT_S6_PKS5_S8_S4_illiii
                                        ; -- End function
	.section	.AMDGPU.csdata,"",@progbits
; Kernel info:
; codeLenInByte = 1184
; NumSgprs: 28
; NumVgprs: 12
; ScratchSize: 0
; MemoryBound: 0
; FloatMode: 240
; IeeeMode: 1
; LDSByteSize: 0 bytes/workgroup (compile time only)
; SGPRBlocks: 3
; VGPRBlocks: 1
; NumSGPRsForWavesPerEU: 28
; NumVGPRsForWavesPerEU: 12
; Occupancy: 16
; WaveLimiterHint : 1
; COMPUTE_PGM_RSRC2:SCRATCH_EN: 0
; COMPUTE_PGM_RSRC2:USER_SGPR: 15
; COMPUTE_PGM_RSRC2:TRAP_HANDLER: 0
; COMPUTE_PGM_RSRC2:TGID_X_EN: 1
; COMPUTE_PGM_RSRC2:TGID_Y_EN: 0
; COMPUTE_PGM_RSRC2:TGID_Z_EN: 0
; COMPUTE_PGM_RSRC2:TIDIG_COMP_CNT: 0
	.section	.text._ZN4vllm31batched_rotary_embedding_kernelIN3c104HalfELb0ELb1EEEvPKlPT_S6_PKS5_S8_S4_illiii,"axG",@progbits,_ZN4vllm31batched_rotary_embedding_kernelIN3c104HalfELb0ELb1EEEvPKlPT_S6_PKS5_S8_S4_illiii,comdat
	.protected	_ZN4vllm31batched_rotary_embedding_kernelIN3c104HalfELb0ELb1EEEvPKlPT_S6_PKS5_S8_S4_illiii ; -- Begin function _ZN4vllm31batched_rotary_embedding_kernelIN3c104HalfELb0ELb1EEEvPKlPT_S6_PKS5_S8_S4_illiii
	.globl	_ZN4vllm31batched_rotary_embedding_kernelIN3c104HalfELb0ELb1EEEvPKlPT_S6_PKS5_S8_S4_illiii
	.p2align	8
	.type	_ZN4vllm31batched_rotary_embedding_kernelIN3c104HalfELb0ELb1EEEvPKlPT_S6_PKS5_S8_S4_illiii,@function
_ZN4vllm31batched_rotary_embedding_kernelIN3c104HalfELb0ELb1EEEvPKlPT_S6_PKS5_S8_S4_illiii: ; @_ZN4vllm31batched_rotary_embedding_kernelIN3c104HalfELb0ELb1EEEvPKlPT_S6_PKS5_S8_S4_illiii
; %bb.0:
	s_mov_b32 s2, s15
	s_clause 0x2
	s_load_b32 s22, s[0:1], 0x30
	s_load_b64 s[4:5], s[0:1], 0x0
	s_load_b256 s[12:19], s[0:1], 0x10
	s_ashr_i32 s3, s2, 31
	v_lshlrev_b32_e32 v1, 1, v0
	s_lshl_b64 s[6:7], s[2:3], 3
	s_waitcnt lgkmcnt(0)
	s_ashr_i32 s23, s22, 31
	s_add_u32 s4, s4, s6
	s_addc_u32 s5, s5, s7
	s_add_u32 s6, s18, s6
	s_addc_u32 s7, s19, s7
	s_load_b64 s[18:19], s[4:5], 0x0
	s_load_b64 s[20:21], s[6:7], 0x0
	s_load_b256 s[4:11], s[0:1], 0x38
	s_waitcnt lgkmcnt(0)
	s_add_u32 s11, s20, s18
	s_addc_u32 s18, s21, s19
	s_mul_i32 s19, s11, s23
	s_mul_hi_u32 s20, s11, s22
	s_mul_i32 s18, s18, s22
	s_add_i32 s19, s20, s19
	s_mul_i32 s11, s11, s22
	s_add_i32 s19, s19, s18
	s_mov_b32 s21, exec_lo
	s_lshr_b32 s18, s19, 31
	s_delay_alu instid0(SALU_CYCLE_1) | instskip(SKIP_2) | instid1(SALU_CYCLE_1)
	s_add_u32 s11, s11, s18
	s_addc_u32 s19, s19, 0
	s_and_b32 s20, s11, -2
	s_add_u32 s11, s14, s20
	s_addc_u32 s18, s15, s19
	s_add_u32 s16, s16, s20
	s_addc_u32 s17, s17, s19
	s_lshr_b32 s14, s22, 31
	s_mov_b32 s20, 0
	s_add_i32 s14, s22, s14
	s_delay_alu instid0(SALU_CYCLE_1)
	s_ashr_i32 s19, s14, 1
	s_sub_i32 s14, s10, s22
	s_mul_i32 s8, s19, s8
	s_ashr_i32 s15, s14, 31
	v_cmpx_gt_i32_e64 s8, v0
	s_cbranch_execz .LBB19_3
; %bb.1:
	s_clause 0x1
	s_load_b64 s[22:23], s[0:1], 0x8
	s_load_b32 s28, s[0:1], 0x64
	s_lshl_b64 s[24:25], s[14:15], 1
	s_mul_i32 s5, s2, s5
	s_mul_hi_u32 s26, s2, s4
	s_mul_i32 s27, s3, s4
	s_mul_i32 s4, s2, s4
	s_waitcnt lgkmcnt(0)
	s_add_u32 s22, s22, s24
	s_addc_u32 s23, s23, s25
	s_add_i32 s5, s26, s5
	s_delay_alu instid0(SALU_CYCLE_1) | instskip(NEXT) | instid1(SALU_CYCLE_1)
	s_add_i32 s5, s5, s27
	s_lshl_b64 s[4:5], s[4:5], 1
	s_delay_alu instid0(SALU_CYCLE_1)
	s_add_u32 s4, s22, s4
	s_addc_u32 s5, s23, s5
	s_abs_i32 s22, s19
	s_lshl_b32 s25, s19, 1
	v_cvt_f32_u32_e32 v2, s22
	s_sub_i32 s23, 0, s22
	s_ashr_i32 s24, s19, 31
	s_sub_i32 s25, 0, s25
	s_sub_i32 s27, 0, s19
	v_rcp_iflag_f32_e32 v2, v2
	s_waitcnt_depctr 0xfff
	v_mul_f32_e32 v2, 0x4f7ffffe, v2
	s_delay_alu instid0(VALU_DEP_1) | instskip(NEXT) | instid1(VALU_DEP_1)
	v_cvt_u32_f32_e32 v3, v2
	v_mul_lo_u32 v2, s23, v3
	s_and_b32 s23, s28, 0xffff
	s_delay_alu instid0(SALU_CYCLE_1) | instskip(NEXT) | instid1(VALU_DEP_1)
	s_lshl_b32 s26, s23, 1
	v_mul_hi_u32 v4, v3, v2
	v_lshlrev_b32_e32 v2, 1, v0
	s_delay_alu instid0(VALU_DEP_2)
	v_dual_mov_b32 v3, v0 :: v_dual_add_nc_u32 v4, v3, v4
.LBB19_2:                               ; =>This Inner Loop Header: Depth=1
	s_delay_alu instid0(VALU_DEP_1) | instskip(SKIP_1) | instid1(VALU_DEP_2)
	v_sub_nc_u32_e32 v5, 0, v3
	v_ashrrev_i32_e32 v6, 31, v3
	v_max_i32_e32 v5, v3, v5
	s_delay_alu instid0(VALU_DEP_2) | instskip(NEXT) | instid1(VALU_DEP_2)
	v_xor_b32_e32 v6, s24, v6
	v_mul_hi_u32 v7, v5, v4
	s_delay_alu instid0(VALU_DEP_1) | instskip(SKIP_1) | instid1(VALU_DEP_2)
	v_mul_lo_u32 v8, v7, s22
	v_add_nc_u32_e32 v9, 1, v7
	v_sub_nc_u32_e32 v5, v5, v8
	s_delay_alu instid0(VALU_DEP_1) | instskip(SKIP_1) | instid1(VALU_DEP_4)
	v_subrev_nc_u32_e32 v8, s22, v5
	v_cmp_le_u32_e32 vcc_lo, s22, v5
	v_cndmask_b32_e32 v7, v7, v9, vcc_lo
	s_delay_alu instid0(VALU_DEP_1) | instskip(NEXT) | instid1(VALU_DEP_1)
	v_dual_cndmask_b32 v5, v5, v8 :: v_dual_add_nc_u32 v8, 1, v7
	v_cmp_le_u32_e32 vcc_lo, s22, v5
	s_delay_alu instid0(VALU_DEP_2) | instskip(NEXT) | instid1(VALU_DEP_1)
	v_cndmask_b32_e32 v5, v7, v8, vcc_lo
	v_xor_b32_e32 v5, v5, v6
	s_delay_alu instid0(VALU_DEP_1) | instskip(NEXT) | instid1(VALU_DEP_1)
	v_sub_nc_u32_e32 v6, v5, v6
	v_mul_lo_u32 v5, v6, s10
	v_mad_u64_u32 v[7:8], null, s27, v6, v[3:4]
	v_mad_u64_u32 v[9:10], null, s25, v6, v[2:3]
	v_add_nc_u32_e32 v3, s23, v3
	v_add_nc_u32_e32 v2, s26, v2
	v_ashrrev_i32_e32 v6, 31, v5
	v_ashrrev_i32_e32 v8, 31, v7
	v_ashrrev_i32_e32 v10, 31, v9
	s_delay_alu instid0(VALU_DEP_3) | instskip(NEXT) | instid1(VALU_DEP_3)
	v_lshlrev_b64 v[5:6], 1, v[5:6]
	v_lshlrev_b64 v[7:8], 1, v[7:8]
	s_delay_alu instid0(VALU_DEP_3) | instskip(NEXT) | instid1(VALU_DEP_3)
	v_lshlrev_b64 v[9:10], 1, v[9:10]
	v_add_co_u32 v11, vcc_lo, s4, v5
	s_delay_alu instid0(VALU_DEP_4) | instskip(NEXT) | instid1(VALU_DEP_4)
	v_add_co_ci_u32_e32 v12, vcc_lo, s5, v6, vcc_lo
	v_add_co_u32 v5, vcc_lo, s11, v7
	v_add_co_ci_u32_e32 v6, vcc_lo, s18, v8, vcc_lo
	s_delay_alu instid0(VALU_DEP_4) | instskip(NEXT) | instid1(VALU_DEP_4)
	v_add_co_u32 v9, vcc_lo, v11, v9
	v_add_co_ci_u32_e32 v10, vcc_lo, v12, v10, vcc_lo
	v_add_co_u32 v7, vcc_lo, s16, v7
	v_add_co_ci_u32_e32 v8, vcc_lo, s17, v8, vcc_lo
	global_load_b32 v11, v[9:10], off
	global_load_u16 v7, v[7:8], off
	global_load_u16 v5, v[5:6], off
	v_cmp_le_i32_e32 vcc_lo, s8, v3
	s_or_b32 s20, vcc_lo, s20
	s_waitcnt vmcnt(2)
	v_lshrrev_b32_e32 v6, 16, v11
	s_waitcnt vmcnt(1)
	s_delay_alu instid0(VALU_DEP_1) | instskip(SKIP_2) | instid1(VALU_DEP_2)
	v_mul_f16_e32 v8, v7, v6
	s_waitcnt vmcnt(0)
	v_mul_f16_e32 v6, v5, v6
	v_fma_f16 v5, v5, v11, -v8
	s_delay_alu instid0(VALU_DEP_2) | instskip(NEXT) | instid1(VALU_DEP_1)
	v_fmac_f16_e32 v6, v7, v11
	v_pack_b32_f16 v5, v5, v6
	global_store_b32 v[9:10], v5, off
	s_and_not1_b32 exec_lo, exec_lo, s20
	s_cbranch_execnz .LBB19_2
.LBB19_3:
	s_or_b32 exec_lo, exec_lo, s21
	s_mul_i32 s4, s19, s9
	s_mov_b32 s5, exec_lo
	v_cmpx_gt_i32_e64 s4, v0
	s_cbranch_execz .LBB19_6
; %bb.4:
	s_lshl_b64 s[8:9], s[14:15], 1
	s_mul_i32 s5, s2, s7
	s_add_u32 s7, s12, s8
	s_mul_hi_u32 s8, s2, s6
	s_addc_u32 s9, s13, s9
	s_add_i32 s5, s8, s5
	s_mul_i32 s3, s3, s6
	s_mul_i32 s2, s2, s6
	s_add_i32 s3, s5, s3
	s_load_b32 s0, s[0:1], 0x64
	s_lshl_b64 s[2:3], s[2:3], 1
	s_mov_b32 s6, 0
	s_add_u32 s2, s7, s2
	s_addc_u32 s3, s9, s3
	s_abs_i32 s5, s19
	s_lshl_b32 s7, s19, 1
	v_cvt_f32_u32_e32 v2, s5
	s_sub_i32 s1, 0, s5
	s_sub_i32 s7, 0, s7
	;; [unrolled: 1-line block ×3, first 2 shown]
	s_delay_alu instid0(VALU_DEP_1)
	v_rcp_iflag_f32_e32 v2, v2
	s_waitcnt lgkmcnt(0)
	s_and_b32 s0, s0, 0xffff
	s_waitcnt_depctr 0xfff
	v_mul_f32_e32 v2, 0x4f7ffffe, v2
	s_lshl_b32 s8, s0, 1
	s_delay_alu instid0(VALU_DEP_1) | instskip(NEXT) | instid1(VALU_DEP_1)
	v_cvt_u32_f32_e32 v2, v2
	v_mul_lo_u32 v3, s1, v2
	s_ashr_i32 s1, s19, 31
	s_delay_alu instid0(VALU_DEP_1) | instskip(NEXT) | instid1(VALU_DEP_1)
	v_mul_hi_u32 v3, v2, v3
	v_add_nc_u32_e32 v2, v2, v3
.LBB19_5:                               ; =>This Inner Loop Header: Depth=1
	v_sub_nc_u32_e32 v3, 0, v0
	v_ashrrev_i32_e32 v4, 31, v0
	s_delay_alu instid0(VALU_DEP_2) | instskip(NEXT) | instid1(VALU_DEP_2)
	v_max_i32_e32 v3, v0, v3
	v_xor_b32_e32 v4, s1, v4
	s_delay_alu instid0(VALU_DEP_2) | instskip(NEXT) | instid1(VALU_DEP_1)
	v_mul_hi_u32 v5, v3, v2
	v_mul_lo_u32 v6, v5, s5
	v_add_nc_u32_e32 v7, 1, v5
	s_delay_alu instid0(VALU_DEP_2) | instskip(NEXT) | instid1(VALU_DEP_1)
	v_sub_nc_u32_e32 v3, v3, v6
	v_subrev_nc_u32_e32 v6, s5, v3
	v_cmp_le_u32_e32 vcc_lo, s5, v3
	s_delay_alu instid0(VALU_DEP_4) | instskip(NEXT) | instid1(VALU_DEP_1)
	v_cndmask_b32_e32 v5, v5, v7, vcc_lo
	v_dual_cndmask_b32 v3, v3, v6 :: v_dual_add_nc_u32 v6, 1, v5
	s_delay_alu instid0(VALU_DEP_1) | instskip(NEXT) | instid1(VALU_DEP_2)
	v_cmp_le_u32_e32 vcc_lo, s5, v3
	v_cndmask_b32_e32 v3, v5, v6, vcc_lo
	s_delay_alu instid0(VALU_DEP_1) | instskip(NEXT) | instid1(VALU_DEP_1)
	v_xor_b32_e32 v3, v3, v4
	v_sub_nc_u32_e32 v4, v3, v4
	s_delay_alu instid0(VALU_DEP_1)
	v_mul_lo_u32 v3, v4, s10
	v_mad_u64_u32 v[5:6], null, s9, v4, v[0:1]
	v_mad_u64_u32 v[7:8], null, s7, v4, v[1:2]
	v_add_nc_u32_e32 v0, s0, v0
	v_add_nc_u32_e32 v1, s8, v1
	v_ashrrev_i32_e32 v4, 31, v3
	v_ashrrev_i32_e32 v6, 31, v5
	;; [unrolled: 1-line block ×3, first 2 shown]
	s_delay_alu instid0(VALU_DEP_3) | instskip(NEXT) | instid1(VALU_DEP_3)
	v_lshlrev_b64 v[3:4], 1, v[3:4]
	v_lshlrev_b64 v[5:6], 1, v[5:6]
	s_delay_alu instid0(VALU_DEP_3) | instskip(NEXT) | instid1(VALU_DEP_3)
	v_lshlrev_b64 v[7:8], 1, v[7:8]
	v_add_co_u32 v9, vcc_lo, s2, v3
	s_delay_alu instid0(VALU_DEP_4) | instskip(NEXT) | instid1(VALU_DEP_4)
	v_add_co_ci_u32_e32 v10, vcc_lo, s3, v4, vcc_lo
	v_add_co_u32 v3, vcc_lo, s11, v5
	v_add_co_ci_u32_e32 v4, vcc_lo, s18, v6, vcc_lo
	s_delay_alu instid0(VALU_DEP_4) | instskip(NEXT) | instid1(VALU_DEP_4)
	v_add_co_u32 v7, vcc_lo, v9, v7
	v_add_co_ci_u32_e32 v8, vcc_lo, v10, v8, vcc_lo
	v_add_co_u32 v5, vcc_lo, s16, v5
	v_add_co_ci_u32_e32 v6, vcc_lo, s17, v6, vcc_lo
	global_load_b32 v9, v[7:8], off
	global_load_u16 v5, v[5:6], off
	global_load_u16 v3, v[3:4], off
	v_cmp_le_i32_e32 vcc_lo, s4, v0
	s_or_b32 s6, vcc_lo, s6
	s_waitcnt vmcnt(2)
	v_lshrrev_b32_e32 v4, 16, v9
	s_waitcnt vmcnt(1)
	s_delay_alu instid0(VALU_DEP_1) | instskip(SKIP_2) | instid1(VALU_DEP_2)
	v_mul_f16_e32 v6, v5, v4
	s_waitcnt vmcnt(0)
	v_mul_f16_e32 v4, v3, v4
	v_fma_f16 v3, v3, v9, -v6
	s_delay_alu instid0(VALU_DEP_2) | instskip(NEXT) | instid1(VALU_DEP_1)
	v_fmac_f16_e32 v4, v5, v9
	v_pack_b32_f16 v3, v3, v4
	global_store_b32 v[7:8], v3, off
	s_and_not1_b32 exec_lo, exec_lo, s6
	s_cbranch_execnz .LBB19_5
.LBB19_6:
	s_nop 0
	s_sendmsg sendmsg(MSG_DEALLOC_VGPRS)
	s_endpgm
	.section	.rodata,"a",@progbits
	.p2align	6, 0x0
	.amdhsa_kernel _ZN4vllm31batched_rotary_embedding_kernelIN3c104HalfELb0ELb1EEEvPKlPT_S6_PKS5_S8_S4_illiii
		.amdhsa_group_segment_fixed_size 0
		.amdhsa_private_segment_fixed_size 0
		.amdhsa_kernarg_size 344
		.amdhsa_user_sgpr_count 15
		.amdhsa_user_sgpr_dispatch_ptr 0
		.amdhsa_user_sgpr_queue_ptr 0
		.amdhsa_user_sgpr_kernarg_segment_ptr 1
		.amdhsa_user_sgpr_dispatch_id 0
		.amdhsa_user_sgpr_private_segment_size 0
		.amdhsa_wavefront_size32 1
		.amdhsa_uses_dynamic_stack 0
		.amdhsa_enable_private_segment 0
		.amdhsa_system_sgpr_workgroup_id_x 1
		.amdhsa_system_sgpr_workgroup_id_y 0
		.amdhsa_system_sgpr_workgroup_id_z 0
		.amdhsa_system_sgpr_workgroup_info 0
		.amdhsa_system_vgpr_workitem_id 0
		.amdhsa_next_free_vgpr 13
		.amdhsa_next_free_sgpr 29
		.amdhsa_reserve_vcc 1
		.amdhsa_float_round_mode_32 0
		.amdhsa_float_round_mode_16_64 0
		.amdhsa_float_denorm_mode_32 3
		.amdhsa_float_denorm_mode_16_64 3
		.amdhsa_dx10_clamp 1
		.amdhsa_ieee_mode 1
		.amdhsa_fp16_overflow 0
		.amdhsa_workgroup_processor_mode 1
		.amdhsa_memory_ordered 1
		.amdhsa_forward_progress 0
		.amdhsa_shared_vgpr_count 0
		.amdhsa_exception_fp_ieee_invalid_op 0
		.amdhsa_exception_fp_denorm_src 0
		.amdhsa_exception_fp_ieee_div_zero 0
		.amdhsa_exception_fp_ieee_overflow 0
		.amdhsa_exception_fp_ieee_underflow 0
		.amdhsa_exception_fp_ieee_inexact 0
		.amdhsa_exception_int_div_zero 0
	.end_amdhsa_kernel
	.section	.text._ZN4vllm31batched_rotary_embedding_kernelIN3c104HalfELb0ELb1EEEvPKlPT_S6_PKS5_S8_S4_illiii,"axG",@progbits,_ZN4vllm31batched_rotary_embedding_kernelIN3c104HalfELb0ELb1EEEvPKlPT_S6_PKS5_S8_S4_illiii,comdat
.Lfunc_end19:
	.size	_ZN4vllm31batched_rotary_embedding_kernelIN3c104HalfELb0ELb1EEEvPKlPT_S6_PKS5_S8_S4_illiii, .Lfunc_end19-_ZN4vllm31batched_rotary_embedding_kernelIN3c104HalfELb0ELb1EEEvPKlPT_S6_PKS5_S8_S4_illiii
                                        ; -- End function
	.section	.AMDGPU.csdata,"",@progbits
; Kernel info:
; codeLenInByte = 1256
; NumSgprs: 31
; NumVgprs: 13
; ScratchSize: 0
; MemoryBound: 0
; FloatMode: 240
; IeeeMode: 1
; LDSByteSize: 0 bytes/workgroup (compile time only)
; SGPRBlocks: 3
; VGPRBlocks: 1
; NumSGPRsForWavesPerEU: 31
; NumVGPRsForWavesPerEU: 13
; Occupancy: 16
; WaveLimiterHint : 1
; COMPUTE_PGM_RSRC2:SCRATCH_EN: 0
; COMPUTE_PGM_RSRC2:USER_SGPR: 15
; COMPUTE_PGM_RSRC2:TRAP_HANDLER: 0
; COMPUTE_PGM_RSRC2:TGID_X_EN: 1
; COMPUTE_PGM_RSRC2:TGID_Y_EN: 0
; COMPUTE_PGM_RSRC2:TGID_Z_EN: 0
; COMPUTE_PGM_RSRC2:TIDIG_COMP_CNT: 0
	.section	.text._ZN4vllm31batched_rotary_embedding_kernelIN3c104HalfELb0ELb0EEEvPKlPT_S6_PKS5_S8_S4_illiii,"axG",@progbits,_ZN4vllm31batched_rotary_embedding_kernelIN3c104HalfELb0ELb0EEEvPKlPT_S6_PKS5_S8_S4_illiii,comdat
	.protected	_ZN4vllm31batched_rotary_embedding_kernelIN3c104HalfELb0ELb0EEEvPKlPT_S6_PKS5_S8_S4_illiii ; -- Begin function _ZN4vllm31batched_rotary_embedding_kernelIN3c104HalfELb0ELb0EEEvPKlPT_S6_PKS5_S8_S4_illiii
	.globl	_ZN4vllm31batched_rotary_embedding_kernelIN3c104HalfELb0ELb0EEEvPKlPT_S6_PKS5_S8_S4_illiii
	.p2align	8
	.type	_ZN4vllm31batched_rotary_embedding_kernelIN3c104HalfELb0ELb0EEEvPKlPT_S6_PKS5_S8_S4_illiii,@function
_ZN4vllm31batched_rotary_embedding_kernelIN3c104HalfELb0ELb0EEEvPKlPT_S6_PKS5_S8_S4_illiii: ; @_ZN4vllm31batched_rotary_embedding_kernelIN3c104HalfELb0ELb0EEEvPKlPT_S6_PKS5_S8_S4_illiii
; %bb.0:
	s_mov_b32 s2, s15
	s_clause 0x2
	s_load_b32 s22, s[0:1], 0x30
	s_load_b64 s[4:5], s[0:1], 0x0
	s_load_b256 s[12:19], s[0:1], 0x10
	s_ashr_i32 s3, s2, 31
	v_lshlrev_b32_e32 v1, 1, v0
	s_lshl_b64 s[6:7], s[2:3], 3
	s_waitcnt lgkmcnt(0)
	s_ashr_i32 s23, s22, 31
	s_add_u32 s4, s4, s6
	s_addc_u32 s5, s5, s7
	s_add_u32 s6, s18, s6
	s_addc_u32 s7, s19, s7
	s_load_b64 s[18:19], s[4:5], 0x0
	s_load_b64 s[20:21], s[6:7], 0x0
	s_load_b256 s[4:11], s[0:1], 0x38
	s_waitcnt lgkmcnt(0)
	s_add_u32 s11, s20, s18
	s_addc_u32 s18, s21, s19
	s_mul_i32 s19, s11, s23
	s_mul_hi_u32 s20, s11, s22
	s_mul_i32 s18, s18, s22
	s_add_i32 s19, s20, s19
	s_mul_i32 s11, s11, s22
	s_add_i32 s19, s19, s18
	s_delay_alu instid0(SALU_CYCLE_1) | instskip(NEXT) | instid1(SALU_CYCLE_1)
	s_lshr_b32 s18, s19, 31
	s_add_u32 s11, s11, s18
	s_addc_u32 s18, s19, 0
	s_and_b32 s19, s11, -2
	s_delay_alu instid0(SALU_CYCLE_1)
	s_add_u32 s11, s14, s19
	s_addc_u32 s14, s15, s18
	s_add_u32 s15, s16, s19
	s_addc_u32 s16, s17, s18
	s_lshr_b32 s17, s22, 31
	s_mov_b32 s19, 0
	s_add_i32 s22, s22, s17
	s_mov_b32 s18, exec_lo
	s_ashr_i32 s17, s22, 1
	s_delay_alu instid0(SALU_CYCLE_1) | instskip(NEXT) | instid1(SALU_CYCLE_1)
	s_mul_i32 s8, s17, s8
	v_cmpx_gt_i32_e64 s8, v0
	s_cbranch_execz .LBB20_3
; %bb.1:
	s_load_b64 s[20:21], s[0:1], 0x8
	s_mul_i32 s5, s2, s5
	s_mul_hi_u32 s22, s2, s4
	s_mul_i32 s23, s3, s4
	s_add_i32 s5, s22, s5
	s_load_b32 s22, s[0:1], 0x64
	s_mul_i32 s4, s2, s4
	s_add_i32 s5, s5, s23
	s_delay_alu instid0(SALU_CYCLE_1)
	s_lshl_b64 s[4:5], s[4:5], 1
	s_waitcnt lgkmcnt(0)
	s_add_u32 s4, s20, s4
	s_addc_u32 s5, s21, s5
	s_abs_i32 s20, s17
	s_lshl_b32 s23, s17, 1
	v_cvt_f32_u32_e32 v2, s20
	s_sub_i32 s21, 0, s20
	s_sub_i32 s23, 0, s23
	;; [unrolled: 1-line block ×3, first 2 shown]
	s_delay_alu instid0(VALU_DEP_1) | instskip(SKIP_2) | instid1(VALU_DEP_1)
	v_rcp_iflag_f32_e32 v2, v2
	s_waitcnt_depctr 0xfff
	v_mul_f32_e32 v2, 0x4f7ffffe, v2
	v_cvt_u32_f32_e32 v3, v2
	s_delay_alu instid0(VALU_DEP_1) | instskip(SKIP_3) | instid1(VALU_DEP_1)
	v_mul_lo_u32 v2, s21, v3
	s_and_b32 s21, s22, 0xffff
	s_ashr_i32 s22, s17, 31
	s_lshl_b32 s24, s21, 1
	v_mul_hi_u32 v4, v3, v2
	v_lshlrev_b32_e32 v2, 1, v0
	s_delay_alu instid0(VALU_DEP_2)
	v_dual_mov_b32 v3, v0 :: v_dual_add_nc_u32 v4, v3, v4
.LBB20_2:                               ; =>This Inner Loop Header: Depth=1
	s_delay_alu instid0(VALU_DEP_1) | instskip(SKIP_1) | instid1(VALU_DEP_2)
	v_sub_nc_u32_e32 v5, 0, v3
	v_ashrrev_i32_e32 v6, 31, v3
	v_max_i32_e32 v5, v3, v5
	s_delay_alu instid0(VALU_DEP_2) | instskip(NEXT) | instid1(VALU_DEP_2)
	v_xor_b32_e32 v6, s22, v6
	v_mul_hi_u32 v7, v5, v4
	s_delay_alu instid0(VALU_DEP_1) | instskip(SKIP_1) | instid1(VALU_DEP_2)
	v_mul_lo_u32 v8, v7, s20
	v_add_nc_u32_e32 v9, 1, v7
	v_sub_nc_u32_e32 v5, v5, v8
	s_delay_alu instid0(VALU_DEP_1) | instskip(SKIP_1) | instid1(VALU_DEP_4)
	v_subrev_nc_u32_e32 v8, s20, v5
	v_cmp_le_u32_e32 vcc_lo, s20, v5
	v_cndmask_b32_e32 v7, v7, v9, vcc_lo
	s_delay_alu instid0(VALU_DEP_1) | instskip(NEXT) | instid1(VALU_DEP_1)
	v_dual_cndmask_b32 v5, v5, v8 :: v_dual_add_nc_u32 v8, 1, v7
	v_cmp_le_u32_e32 vcc_lo, s20, v5
	s_delay_alu instid0(VALU_DEP_2) | instskip(NEXT) | instid1(VALU_DEP_1)
	v_cndmask_b32_e32 v5, v7, v8, vcc_lo
	v_xor_b32_e32 v5, v5, v6
	s_delay_alu instid0(VALU_DEP_1) | instskip(NEXT) | instid1(VALU_DEP_1)
	v_sub_nc_u32_e32 v6, v5, v6
	v_mul_lo_u32 v5, v6, s10
	v_mad_u64_u32 v[7:8], null, s25, v6, v[3:4]
	v_mad_u64_u32 v[9:10], null, s23, v6, v[2:3]
	v_add_nc_u32_e32 v3, s21, v3
	v_add_nc_u32_e32 v2, s24, v2
	v_ashrrev_i32_e32 v6, 31, v5
	v_ashrrev_i32_e32 v8, 31, v7
	;; [unrolled: 1-line block ×3, first 2 shown]
	s_delay_alu instid0(VALU_DEP_3) | instskip(NEXT) | instid1(VALU_DEP_3)
	v_lshlrev_b64 v[5:6], 1, v[5:6]
	v_lshlrev_b64 v[7:8], 1, v[7:8]
	s_delay_alu instid0(VALU_DEP_3) | instskip(NEXT) | instid1(VALU_DEP_3)
	v_lshlrev_b64 v[9:10], 1, v[9:10]
	v_add_co_u32 v11, vcc_lo, s4, v5
	s_delay_alu instid0(VALU_DEP_4) | instskip(NEXT) | instid1(VALU_DEP_4)
	v_add_co_ci_u32_e32 v12, vcc_lo, s5, v6, vcc_lo
	v_add_co_u32 v5, vcc_lo, s11, v7
	v_add_co_ci_u32_e32 v6, vcc_lo, s14, v8, vcc_lo
	s_delay_alu instid0(VALU_DEP_4) | instskip(NEXT) | instid1(VALU_DEP_4)
	v_add_co_u32 v9, vcc_lo, v11, v9
	v_add_co_ci_u32_e32 v10, vcc_lo, v12, v10, vcc_lo
	v_add_co_u32 v7, vcc_lo, s15, v7
	v_add_co_ci_u32_e32 v8, vcc_lo, s16, v8, vcc_lo
	global_load_b32 v11, v[9:10], off
	global_load_u16 v7, v[7:8], off
	global_load_u16 v5, v[5:6], off
	v_cmp_le_i32_e32 vcc_lo, s8, v3
	s_or_b32 s19, vcc_lo, s19
	s_waitcnt vmcnt(2)
	v_lshrrev_b32_e32 v6, 16, v11
	s_waitcnt vmcnt(1)
	s_delay_alu instid0(VALU_DEP_1) | instskip(SKIP_2) | instid1(VALU_DEP_2)
	v_mul_f16_e32 v8, v7, v6
	s_waitcnt vmcnt(0)
	v_mul_f16_e32 v6, v5, v6
	v_fma_f16 v5, v5, v11, -v8
	s_delay_alu instid0(VALU_DEP_2) | instskip(NEXT) | instid1(VALU_DEP_1)
	v_fmac_f16_e32 v6, v7, v11
	v_pack_b32_f16 v5, v5, v6
	global_store_b32 v[9:10], v5, off
	s_and_not1_b32 exec_lo, exec_lo, s19
	s_cbranch_execnz .LBB20_2
.LBB20_3:
	s_or_b32 exec_lo, exec_lo, s18
	s_mul_i32 s4, s17, s9
	s_mov_b32 s5, exec_lo
	v_cmpx_gt_i32_e64 s4, v0
	s_cbranch_execz .LBB20_6
; %bb.4:
	s_mul_i32 s5, s2, s7
	s_mul_hi_u32 s7, s2, s6
	s_mul_i32 s3, s3, s6
	s_add_i32 s5, s7, s5
	s_mul_i32 s2, s2, s6
	s_add_i32 s3, s5, s3
	s_load_b32 s0, s[0:1], 0x64
	s_lshl_b64 s[2:3], s[2:3], 1
	s_mov_b32 s6, 0
	s_add_u32 s2, s12, s2
	s_addc_u32 s3, s13, s3
	s_abs_i32 s5, s17
	s_lshl_b32 s7, s17, 1
	v_cvt_f32_u32_e32 v2, s5
	s_sub_i32 s1, 0, s5
	s_sub_i32 s7, 0, s7
	;; [unrolled: 1-line block ×3, first 2 shown]
	s_delay_alu instid0(VALU_DEP_1)
	v_rcp_iflag_f32_e32 v2, v2
	s_waitcnt lgkmcnt(0)
	s_and_b32 s0, s0, 0xffff
	s_waitcnt_depctr 0xfff
	v_mul_f32_e32 v2, 0x4f7ffffe, v2
	s_lshl_b32 s8, s0, 1
	s_delay_alu instid0(VALU_DEP_1) | instskip(NEXT) | instid1(VALU_DEP_1)
	v_cvt_u32_f32_e32 v2, v2
	v_mul_lo_u32 v3, s1, v2
	s_ashr_i32 s1, s17, 31
	s_delay_alu instid0(VALU_DEP_1) | instskip(NEXT) | instid1(VALU_DEP_1)
	v_mul_hi_u32 v3, v2, v3
	v_add_nc_u32_e32 v2, v2, v3
.LBB20_5:                               ; =>This Inner Loop Header: Depth=1
	v_sub_nc_u32_e32 v3, 0, v0
	v_ashrrev_i32_e32 v4, 31, v0
	s_delay_alu instid0(VALU_DEP_2) | instskip(NEXT) | instid1(VALU_DEP_2)
	v_max_i32_e32 v3, v0, v3
	v_xor_b32_e32 v4, s1, v4
	s_delay_alu instid0(VALU_DEP_2) | instskip(NEXT) | instid1(VALU_DEP_1)
	v_mul_hi_u32 v5, v3, v2
	v_mul_lo_u32 v6, v5, s5
	v_add_nc_u32_e32 v7, 1, v5
	s_delay_alu instid0(VALU_DEP_2) | instskip(NEXT) | instid1(VALU_DEP_1)
	v_sub_nc_u32_e32 v3, v3, v6
	v_subrev_nc_u32_e32 v6, s5, v3
	v_cmp_le_u32_e32 vcc_lo, s5, v3
	s_delay_alu instid0(VALU_DEP_4) | instskip(NEXT) | instid1(VALU_DEP_1)
	v_cndmask_b32_e32 v5, v5, v7, vcc_lo
	v_dual_cndmask_b32 v3, v3, v6 :: v_dual_add_nc_u32 v6, 1, v5
	s_delay_alu instid0(VALU_DEP_1) | instskip(NEXT) | instid1(VALU_DEP_2)
	v_cmp_le_u32_e32 vcc_lo, s5, v3
	v_cndmask_b32_e32 v3, v5, v6, vcc_lo
	s_delay_alu instid0(VALU_DEP_1) | instskip(NEXT) | instid1(VALU_DEP_1)
	v_xor_b32_e32 v3, v3, v4
	v_sub_nc_u32_e32 v4, v3, v4
	s_delay_alu instid0(VALU_DEP_1)
	v_mul_lo_u32 v3, v4, s10
	v_mad_u64_u32 v[5:6], null, s9, v4, v[0:1]
	v_mad_u64_u32 v[7:8], null, s7, v4, v[1:2]
	v_add_nc_u32_e32 v0, s0, v0
	v_add_nc_u32_e32 v1, s8, v1
	v_ashrrev_i32_e32 v4, 31, v3
	v_ashrrev_i32_e32 v6, 31, v5
	;; [unrolled: 1-line block ×3, first 2 shown]
	s_delay_alu instid0(VALU_DEP_3) | instskip(NEXT) | instid1(VALU_DEP_3)
	v_lshlrev_b64 v[3:4], 1, v[3:4]
	v_lshlrev_b64 v[5:6], 1, v[5:6]
	s_delay_alu instid0(VALU_DEP_3) | instskip(NEXT) | instid1(VALU_DEP_3)
	v_lshlrev_b64 v[7:8], 1, v[7:8]
	v_add_co_u32 v9, vcc_lo, s2, v3
	s_delay_alu instid0(VALU_DEP_4) | instskip(NEXT) | instid1(VALU_DEP_4)
	v_add_co_ci_u32_e32 v10, vcc_lo, s3, v4, vcc_lo
	v_add_co_u32 v3, vcc_lo, s11, v5
	v_add_co_ci_u32_e32 v4, vcc_lo, s14, v6, vcc_lo
	s_delay_alu instid0(VALU_DEP_4) | instskip(NEXT) | instid1(VALU_DEP_4)
	v_add_co_u32 v7, vcc_lo, v9, v7
	v_add_co_ci_u32_e32 v8, vcc_lo, v10, v8, vcc_lo
	v_add_co_u32 v5, vcc_lo, s15, v5
	v_add_co_ci_u32_e32 v6, vcc_lo, s16, v6, vcc_lo
	global_load_b32 v9, v[7:8], off
	global_load_u16 v5, v[5:6], off
	global_load_u16 v3, v[3:4], off
	v_cmp_le_i32_e32 vcc_lo, s4, v0
	s_or_b32 s6, vcc_lo, s6
	s_waitcnt vmcnt(2)
	v_lshrrev_b32_e32 v4, 16, v9
	s_waitcnt vmcnt(1)
	s_delay_alu instid0(VALU_DEP_1) | instskip(SKIP_2) | instid1(VALU_DEP_2)
	v_mul_f16_e32 v6, v5, v4
	s_waitcnt vmcnt(0)
	v_mul_f16_e32 v4, v3, v4
	v_fma_f16 v3, v3, v9, -v6
	s_delay_alu instid0(VALU_DEP_2) | instskip(NEXT) | instid1(VALU_DEP_1)
	v_fmac_f16_e32 v4, v5, v9
	v_pack_b32_f16 v3, v3, v4
	global_store_b32 v[7:8], v3, off
	s_and_not1_b32 exec_lo, exec_lo, s6
	s_cbranch_execnz .LBB20_5
.LBB20_6:
	s_nop 0
	s_sendmsg sendmsg(MSG_DEALLOC_VGPRS)
	s_endpgm
	.section	.rodata,"a",@progbits
	.p2align	6, 0x0
	.amdhsa_kernel _ZN4vllm31batched_rotary_embedding_kernelIN3c104HalfELb0ELb0EEEvPKlPT_S6_PKS5_S8_S4_illiii
		.amdhsa_group_segment_fixed_size 0
		.amdhsa_private_segment_fixed_size 0
		.amdhsa_kernarg_size 344
		.amdhsa_user_sgpr_count 15
		.amdhsa_user_sgpr_dispatch_ptr 0
		.amdhsa_user_sgpr_queue_ptr 0
		.amdhsa_user_sgpr_kernarg_segment_ptr 1
		.amdhsa_user_sgpr_dispatch_id 0
		.amdhsa_user_sgpr_private_segment_size 0
		.amdhsa_wavefront_size32 1
		.amdhsa_uses_dynamic_stack 0
		.amdhsa_enable_private_segment 0
		.amdhsa_system_sgpr_workgroup_id_x 1
		.amdhsa_system_sgpr_workgroup_id_y 0
		.amdhsa_system_sgpr_workgroup_id_z 0
		.amdhsa_system_sgpr_workgroup_info 0
		.amdhsa_system_vgpr_workitem_id 0
		.amdhsa_next_free_vgpr 13
		.amdhsa_next_free_sgpr 26
		.amdhsa_reserve_vcc 1
		.amdhsa_float_round_mode_32 0
		.amdhsa_float_round_mode_16_64 0
		.amdhsa_float_denorm_mode_32 3
		.amdhsa_float_denorm_mode_16_64 3
		.amdhsa_dx10_clamp 1
		.amdhsa_ieee_mode 1
		.amdhsa_fp16_overflow 0
		.amdhsa_workgroup_processor_mode 1
		.amdhsa_memory_ordered 1
		.amdhsa_forward_progress 0
		.amdhsa_shared_vgpr_count 0
		.amdhsa_exception_fp_ieee_invalid_op 0
		.amdhsa_exception_fp_denorm_src 0
		.amdhsa_exception_fp_ieee_div_zero 0
		.amdhsa_exception_fp_ieee_overflow 0
		.amdhsa_exception_fp_ieee_underflow 0
		.amdhsa_exception_fp_ieee_inexact 0
		.amdhsa_exception_int_div_zero 0
	.end_amdhsa_kernel
	.section	.text._ZN4vllm31batched_rotary_embedding_kernelIN3c104HalfELb0ELb0EEEvPKlPT_S6_PKS5_S8_S4_illiii,"axG",@progbits,_ZN4vllm31batched_rotary_embedding_kernelIN3c104HalfELb0ELb0EEEvPKlPT_S6_PKS5_S8_S4_illiii,comdat
.Lfunc_end20:
	.size	_ZN4vllm31batched_rotary_embedding_kernelIN3c104HalfELb0ELb0EEEvPKlPT_S6_PKS5_S8_S4_illiii, .Lfunc_end20-_ZN4vllm31batched_rotary_embedding_kernelIN3c104HalfELb0ELb0EEEvPKlPT_S6_PKS5_S8_S4_illiii
                                        ; -- End function
	.section	.AMDGPU.csdata,"",@progbits
; Kernel info:
; codeLenInByte = 1220
; NumSgprs: 28
; NumVgprs: 13
; ScratchSize: 0
; MemoryBound: 0
; FloatMode: 240
; IeeeMode: 1
; LDSByteSize: 0 bytes/workgroup (compile time only)
; SGPRBlocks: 3
; VGPRBlocks: 1
; NumSGPRsForWavesPerEU: 28
; NumVGPRsForWavesPerEU: 13
; Occupancy: 16
; WaveLimiterHint : 1
; COMPUTE_PGM_RSRC2:SCRATCH_EN: 0
; COMPUTE_PGM_RSRC2:USER_SGPR: 15
; COMPUTE_PGM_RSRC2:TRAP_HANDLER: 0
; COMPUTE_PGM_RSRC2:TGID_X_EN: 1
; COMPUTE_PGM_RSRC2:TGID_Y_EN: 0
; COMPUTE_PGM_RSRC2:TGID_Z_EN: 0
; COMPUTE_PGM_RSRC2:TIDIG_COMP_CNT: 0
	.section	.text._ZN4vllm31batched_rotary_embedding_kernelIN3c108BFloat16ELb1ELb1EEEvPKlPT_S6_PKS5_S8_S4_illiii,"axG",@progbits,_ZN4vllm31batched_rotary_embedding_kernelIN3c108BFloat16ELb1ELb1EEEvPKlPT_S6_PKS5_S8_S4_illiii,comdat
	.protected	_ZN4vllm31batched_rotary_embedding_kernelIN3c108BFloat16ELb1ELb1EEEvPKlPT_S6_PKS5_S8_S4_illiii ; -- Begin function _ZN4vllm31batched_rotary_embedding_kernelIN3c108BFloat16ELb1ELb1EEEvPKlPT_S6_PKS5_S8_S4_illiii
	.globl	_ZN4vllm31batched_rotary_embedding_kernelIN3c108BFloat16ELb1ELb1EEEvPKlPT_S6_PKS5_S8_S4_illiii
	.p2align	8
	.type	_ZN4vllm31batched_rotary_embedding_kernelIN3c108BFloat16ELb1ELb1EEEvPKlPT_S6_PKS5_S8_S4_illiii,@function
_ZN4vllm31batched_rotary_embedding_kernelIN3c108BFloat16ELb1ELb1EEEvPKlPT_S6_PKS5_S8_S4_illiii: ; @_ZN4vllm31batched_rotary_embedding_kernelIN3c108BFloat16ELb1ELb1EEEvPKlPT_S6_PKS5_S8_S4_illiii
; %bb.0:
	s_mov_b32 s20, s15
	s_clause 0x2
	s_load_b32 s23, s[0:1], 0x30
	s_load_b64 s[2:3], s[0:1], 0x0
	s_load_b256 s[12:19], s[0:1], 0x10
	s_ashr_i32 s21, s20, 31
	s_mov_b32 s24, exec_lo
	s_lshl_b64 s[4:5], s[20:21], 3
	s_waitcnt lgkmcnt(0)
	s_ashr_i32 s22, s23, 31
	s_add_u32 s2, s2, s4
	s_addc_u32 s3, s3, s5
	s_add_u32 s4, s18, s4
	s_addc_u32 s5, s19, s5
	s_load_b64 s[2:3], s[2:3], 0x0
	s_load_b64 s[18:19], s[4:5], 0x0
	s_load_b256 s[4:11], s[0:1], 0x38
	s_waitcnt lgkmcnt(0)
	s_add_u32 s2, s18, s2
	s_addc_u32 s3, s19, s3
	s_mul_i32 s11, s2, s22
	s_mul_hi_u32 s18, s2, s23
	s_mul_i32 s3, s3, s23
	s_add_i32 s11, s18, s11
	s_mul_i32 s2, s2, s23
	s_add_i32 s11, s11, s3
	s_delay_alu instid0(SALU_CYCLE_1) | instskip(NEXT) | instid1(SALU_CYCLE_1)
	s_lshr_b32 s3, s11, 31
	s_add_u32 s2, s2, s3
	s_addc_u32 s3, s11, 0
	s_and_b32 s2, s2, -2
	s_delay_alu instid0(SALU_CYCLE_1)
	s_add_u32 s11, s14, s2
	s_addc_u32 s18, s15, s3
	s_add_u32 s19, s16, s2
	s_addc_u32 s22, s17, s3
	s_lshr_b32 s2, s23, 31
	s_sub_i32 s16, s10, s23
	s_add_i32 s2, s23, s2
	s_mov_b32 s23, 0
	s_ashr_i32 s14, s2, 1
	s_ashr_i32 s17, s16, 31
	s_mul_i32 s8, s14, s8
	s_delay_alu instid0(SALU_CYCLE_1)
	v_cmpx_gt_i32_e64 s8, v0
	s_cbranch_execz .LBB21_3
; %bb.1:
	s_clause 0x1
	s_load_b64 s[2:3], s[0:1], 0x8
	s_load_b32 s28, s[0:1], 0x64
	s_lshl_b64 s[26:27], s[16:17], 1
	s_mul_i32 s5, s20, s5
	s_mul_hi_u32 s15, s20, s4
	s_mul_i32 s25, s21, s4
	s_waitcnt lgkmcnt(0)
	s_add_u32 s26, s2, s26
	s_addc_u32 s27, s3, s27
	s_add_i32 s3, s15, s5
	s_mul_i32 s2, s20, s4
	s_add_i32 s3, s3, s25
	s_delay_alu instid0(SALU_CYCLE_1) | instskip(NEXT) | instid1(SALU_CYCLE_1)
	s_lshl_b64 s[2:3], s[2:3], 1
	s_add_u32 s25, s26, s2
	s_addc_u32 s26, s27, s3
	s_abs_i32 s27, s14
	s_ashr_i32 s15, s14, 31
	v_cvt_f32_u32_e32 v1, s27
	s_sub_i32 s2, 0, s27
	s_and_b32 s28, s28, 0xffff
	s_sub_i32 s29, 0, s14
	s_lshl_b64 s[4:5], s[14:15], 1
	v_rcp_iflag_f32_e32 v1, v1
	s_waitcnt_depctr 0xfff
	v_mul_f32_e32 v1, 0x4f7ffffe, v1
	s_delay_alu instid0(VALU_DEP_1) | instskip(NEXT) | instid1(VALU_DEP_1)
	v_cvt_u32_f32_e32 v1, v1
	v_mul_lo_u32 v2, s2, v1
	s_delay_alu instid0(VALU_DEP_1) | instskip(NEXT) | instid1(VALU_DEP_1)
	v_mul_hi_u32 v2, v1, v2
	v_dual_mov_b32 v1, v0 :: v_dual_add_nc_u32 v2, v1, v2
.LBB21_2:                               ; =>This Inner Loop Header: Depth=1
	s_delay_alu instid0(VALU_DEP_1) | instskip(SKIP_1) | instid1(VALU_DEP_2)
	v_sub_nc_u32_e32 v3, 0, v1
	v_ashrrev_i32_e32 v4, 31, v1
	v_max_i32_e32 v3, v1, v3
	s_delay_alu instid0(VALU_DEP_2) | instskip(NEXT) | instid1(VALU_DEP_2)
	v_xor_b32_e32 v4, s15, v4
	v_mul_hi_u32 v5, v3, v2
	s_delay_alu instid0(VALU_DEP_1) | instskip(SKIP_1) | instid1(VALU_DEP_2)
	v_mul_lo_u32 v6, v5, s27
	v_add_nc_u32_e32 v7, 1, v5
	v_sub_nc_u32_e32 v3, v3, v6
	s_delay_alu instid0(VALU_DEP_1) | instskip(SKIP_1) | instid1(VALU_DEP_4)
	v_subrev_nc_u32_e32 v6, s27, v3
	v_cmp_le_u32_e32 vcc_lo, s27, v3
	v_cndmask_b32_e32 v5, v5, v7, vcc_lo
	s_delay_alu instid0(VALU_DEP_1) | instskip(NEXT) | instid1(VALU_DEP_1)
	v_dual_cndmask_b32 v3, v3, v6 :: v_dual_add_nc_u32 v6, 1, v5
	v_cmp_le_u32_e32 vcc_lo, s27, v3
	s_delay_alu instid0(VALU_DEP_2) | instskip(NEXT) | instid1(VALU_DEP_1)
	v_cndmask_b32_e32 v3, v5, v6, vcc_lo
	v_xor_b32_e32 v3, v3, v4
	s_delay_alu instid0(VALU_DEP_1) | instskip(NEXT) | instid1(VALU_DEP_1)
	v_sub_nc_u32_e32 v4, v3, v4
	v_mul_lo_u32 v3, v4, s10
	v_mad_u64_u32 v[5:6], null, s29, v4, v[1:2]
	v_add_nc_u32_e32 v1, s28, v1
	s_delay_alu instid0(VALU_DEP_3) | instskip(NEXT) | instid1(VALU_DEP_3)
	v_ashrrev_i32_e32 v4, 31, v3
	v_ashrrev_i32_e32 v6, 31, v5
	s_delay_alu instid0(VALU_DEP_2) | instskip(NEXT) | instid1(VALU_DEP_2)
	v_lshlrev_b64 v[3:4], 1, v[3:4]
	v_lshlrev_b64 v[5:6], 1, v[5:6]
	s_delay_alu instid0(VALU_DEP_2) | instskip(NEXT) | instid1(VALU_DEP_3)
	v_add_co_u32 v9, vcc_lo, s25, v3
	v_add_co_ci_u32_e32 v10, vcc_lo, s26, v4, vcc_lo
	s_delay_alu instid0(VALU_DEP_3) | instskip(NEXT) | instid1(VALU_DEP_4)
	v_add_co_u32 v3, vcc_lo, s11, v5
	v_add_co_ci_u32_e32 v4, vcc_lo, s18, v6, vcc_lo
	v_add_co_u32 v7, vcc_lo, s19, v5
	v_add_co_ci_u32_e32 v8, vcc_lo, s22, v6, vcc_lo
	;; [unrolled: 2-line block ×3, first 2 shown]
	global_load_u16 v9, v[3:4], off
	global_load_u16 v7, v[7:8], off
	;; [unrolled: 1-line block ×3, first 2 shown]
	v_add_co_u32 v3, vcc_lo, v5, s4
	v_add_co_ci_u32_e32 v4, vcc_lo, s5, v6, vcc_lo
	global_load_u16 v10, v[3:4], off
	s_waitcnt vmcnt(3)
	v_lshrrev_b16 v11, 8, v9
	v_and_b32_e32 v9, 0xff, v9
	s_waitcnt vmcnt(1)
	v_and_b32_e32 v13, 0xff, v8
	v_lshrrev_b16 v12, 8, v7
	v_and_b32_e32 v7, 0xff, v7
	v_lshrrev_b16 v8, 8, v8
	v_lshlrev_b32_e32 v9, 16, v9
	v_lshlrev_b32_e32 v13, 16, v13
	s_delay_alu instid0(VALU_DEP_4)
	v_lshlrev_b32_e32 v7, 16, v7
	s_waitcnt vmcnt(0)
	v_and_b32_e32 v14, 0xff, v10
	v_lshl_or_b32 v9, v11, 24, v9
	v_lshl_or_b32 v8, v8, 24, v13
	v_lshrrev_b16 v10, 8, v10
	v_lshl_or_b32 v7, v12, 24, v7
	s_delay_alu instid0(VALU_DEP_3) | instskip(NEXT) | instid1(VALU_DEP_2)
	v_dual_mul_f32 v12, v9, v8 :: v_dual_lshlrev_b32 v11, 16, v14
	v_mul_f32_e32 v8, v7, v8
	s_delay_alu instid0(VALU_DEP_2) | instskip(NEXT) | instid1(VALU_DEP_3)
	v_lshl_or_b32 v10, v10, 24, v11
	v_bfe_u32 v11, v12, 16, 1
	v_cmp_o_f32_e64 s2, v12, v12
	s_delay_alu instid0(VALU_DEP_4) | instskip(NEXT) | instid1(VALU_DEP_4)
	v_cmp_o_f32_e32 vcc_lo, v8, v8
	v_mul_f32_e32 v7, v7, v10
	v_mul_f32_e32 v9, v9, v10
	v_bfe_u32 v10, v8, 16, 1
	v_add3_u32 v11, v12, v11, 0x7fff
	s_delay_alu instid0(VALU_DEP_3) | instskip(NEXT) | instid1(VALU_DEP_3)
	v_bfe_u32 v14, v9, 16, 1
	v_add3_u32 v10, v8, v10, 0x7fff
	s_delay_alu instid0(VALU_DEP_3) | instskip(NEXT) | instid1(VALU_DEP_3)
	v_lshrrev_b32_e32 v11, 16, v11
	v_add3_u32 v14, v9, v14, 0x7fff
	s_delay_alu instid0(VALU_DEP_3) | instskip(NEXT) | instid1(VALU_DEP_3)
	v_lshrrev_b32_e32 v10, 16, v10
	v_cndmask_b32_e64 v8, 0x7fc0, v11, s2
	v_cmp_o_f32_e64 s2, v9, v9
	s_delay_alu instid0(VALU_DEP_4) | instskip(NEXT) | instid1(VALU_DEP_4)
	v_lshrrev_b32_e32 v12, 16, v14
	v_cndmask_b32_e32 v9, 0x7fc0, v10, vcc_lo
	s_delay_alu instid0(VALU_DEP_4) | instskip(SKIP_3) | instid1(VALU_DEP_4)
	v_and_b32_e32 v10, 0xff, v8
	v_bfe_u32 v13, v7, 16, 1
	v_cmp_o_f32_e32 vcc_lo, v7, v7
	v_lshrrev_b16 v8, 8, v8
	v_lshlrev_b32_e32 v10, 16, v10
	s_delay_alu instid0(VALU_DEP_4) | instskip(NEXT) | instid1(VALU_DEP_2)
	v_add3_u32 v13, v7, v13, 0x7fff
	v_lshl_or_b32 v8, v8, 24, v10
	s_delay_alu instid0(VALU_DEP_2) | instskip(NEXT) | instid1(VALU_DEP_1)
	v_lshrrev_b32_e32 v11, 16, v13
	v_cndmask_b32_e32 v7, 0x7fc0, v11, vcc_lo
	v_cndmask_b32_e64 v11, 0x7fc0, v12, s2
	v_lshrrev_b16 v12, 8, v9
	v_and_b32_e32 v9, 0xff, v9
	v_cmp_le_i32_e32 vcc_lo, s8, v1
	v_and_b32_e32 v13, 0xff, v7
	v_and_b32_e32 v14, 0xff, v11
	v_lshrrev_b16 v7, 8, v7
	v_lshrrev_b16 v11, 8, v11
	v_lshlrev_b32_e32 v9, 16, v9
	v_lshlrev_b32_e32 v13, 16, v13
	s_or_b32 s23, vcc_lo, s23
	s_delay_alu instid0(VALU_DEP_2) | instskip(NEXT) | instid1(VALU_DEP_2)
	v_lshl_or_b32 v9, v12, 24, v9
	v_lshl_or_b32 v7, v7, 24, v13
	s_delay_alu instid0(VALU_DEP_1) | instskip(NEXT) | instid1(VALU_DEP_1)
	v_dual_sub_f32 v7, v8, v7 :: v_dual_lshlrev_b32 v14, 16, v14
	v_lshl_or_b32 v10, v11, 24, v14
	s_delay_alu instid0(VALU_DEP_2) | instskip(NEXT) | instid1(VALU_DEP_2)
	v_cmp_o_f32_e64 s3, v7, v7
	v_add_f32_e32 v8, v9, v10
	v_bfe_u32 v9, v7, 16, 1
	s_delay_alu instid0(VALU_DEP_2) | instskip(NEXT) | instid1(VALU_DEP_2)
	v_bfe_u32 v10, v8, 16, 1
	v_add3_u32 v9, v7, v9, 0x7fff
	v_cmp_o_f32_e64 s2, v8, v8
	s_delay_alu instid0(VALU_DEP_3) | instskip(NEXT) | instid1(VALU_DEP_3)
	v_add3_u32 v10, v8, v10, 0x7fff
	v_lshrrev_b32_e32 v9, 16, v9
	s_delay_alu instid0(VALU_DEP_2) | instskip(NEXT) | instid1(VALU_DEP_2)
	v_lshrrev_b32_e32 v10, 16, v10
	v_cndmask_b32_e64 v7, 0x7fc0, v9, s3
	s_delay_alu instid0(VALU_DEP_2)
	v_cndmask_b32_e64 v8, 0x7fc0, v10, s2
	s_clause 0x1
	global_store_b16 v[5:6], v7, off
	global_store_b16 v[3:4], v8, off
	s_and_not1_b32 exec_lo, exec_lo, s23
	s_cbranch_execnz .LBB21_2
.LBB21_3:
	s_or_b32 exec_lo, exec_lo, s24
	s_mul_i32 s4, s14, s9
	s_mov_b32 s2, exec_lo
	v_cmpx_gt_i32_e64 s4, v0
	s_cbranch_execz .LBB21_6
; %bb.4:
	s_lshl_b64 s[2:3], s[16:17], 1
	s_mul_i32 s5, s20, s7
	s_add_u32 s7, s12, s2
	s_mul_hi_u32 s2, s20, s6
	s_addc_u32 s8, s13, s3
	s_add_i32 s2, s2, s5
	s_mul_i32 s3, s21, s6
	s_load_b32 s0, s[0:1], 0x64
	s_add_i32 s3, s2, s3
	s_mul_i32 s2, s20, s6
	s_mov_b32 s9, 0
	s_lshl_b64 s[2:3], s[2:3], 1
	s_delay_alu instid0(SALU_CYCLE_1)
	s_add_u32 s5, s7, s2
	s_addc_u32 s6, s8, s3
	s_abs_i32 s7, s14
	s_ashr_i32 s15, s14, 31
	v_cvt_f32_u32_e32 v1, s7
	s_sub_i32 s1, 0, s7
	s_sub_i32 s12, 0, s14
	s_lshl_b64 s[2:3], s[14:15], 1
	s_delay_alu instid0(VALU_DEP_1) | instskip(SKIP_4) | instid1(VALU_DEP_1)
	v_rcp_iflag_f32_e32 v1, v1
	s_waitcnt lgkmcnt(0)
	s_and_b32 s8, s0, 0xffff
	s_waitcnt_depctr 0xfff
	v_mul_f32_e32 v1, 0x4f7ffffe, v1
	v_cvt_u32_f32_e32 v1, v1
	s_delay_alu instid0(VALU_DEP_1) | instskip(NEXT) | instid1(VALU_DEP_1)
	v_mul_lo_u32 v2, s1, v1
	v_mul_hi_u32 v2, v1, v2
	s_delay_alu instid0(VALU_DEP_1)
	v_add_nc_u32_e32 v1, v1, v2
.LBB21_5:                               ; =>This Inner Loop Header: Depth=1
	v_sub_nc_u32_e32 v2, 0, v0
	v_ashrrev_i32_e32 v3, 31, v0
	s_delay_alu instid0(VALU_DEP_2) | instskip(NEXT) | instid1(VALU_DEP_2)
	v_max_i32_e32 v2, v0, v2
	v_xor_b32_e32 v3, s15, v3
	s_delay_alu instid0(VALU_DEP_2) | instskip(NEXT) | instid1(VALU_DEP_1)
	v_mul_hi_u32 v4, v2, v1
	v_mul_lo_u32 v5, v4, s7
	v_add_nc_u32_e32 v6, 1, v4
	s_delay_alu instid0(VALU_DEP_2) | instskip(NEXT) | instid1(VALU_DEP_1)
	v_sub_nc_u32_e32 v2, v2, v5
	v_subrev_nc_u32_e32 v5, s7, v2
	v_cmp_le_u32_e32 vcc_lo, s7, v2
	s_delay_alu instid0(VALU_DEP_4) | instskip(NEXT) | instid1(VALU_DEP_1)
	v_cndmask_b32_e32 v4, v4, v6, vcc_lo
	v_dual_cndmask_b32 v2, v2, v5 :: v_dual_add_nc_u32 v5, 1, v4
	s_delay_alu instid0(VALU_DEP_1) | instskip(NEXT) | instid1(VALU_DEP_2)
	v_cmp_le_u32_e32 vcc_lo, s7, v2
	v_cndmask_b32_e32 v2, v4, v5, vcc_lo
	s_delay_alu instid0(VALU_DEP_1) | instskip(NEXT) | instid1(VALU_DEP_1)
	v_xor_b32_e32 v2, v2, v3
	v_sub_nc_u32_e32 v3, v2, v3
	s_delay_alu instid0(VALU_DEP_1) | instskip(SKIP_2) | instid1(VALU_DEP_3)
	v_mul_lo_u32 v2, v3, s10
	v_mad_u64_u32 v[4:5], null, s12, v3, v[0:1]
	v_add_nc_u32_e32 v0, s8, v0
	v_ashrrev_i32_e32 v3, 31, v2
	s_delay_alu instid0(VALU_DEP_3) | instskip(NEXT) | instid1(VALU_DEP_2)
	v_ashrrev_i32_e32 v5, 31, v4
	v_lshlrev_b64 v[2:3], 1, v[2:3]
	s_delay_alu instid0(VALU_DEP_2) | instskip(NEXT) | instid1(VALU_DEP_2)
	v_lshlrev_b64 v[4:5], 1, v[4:5]
	v_add_co_u32 v8, vcc_lo, s5, v2
	s_delay_alu instid0(VALU_DEP_3) | instskip(NEXT) | instid1(VALU_DEP_3)
	v_add_co_ci_u32_e32 v9, vcc_lo, s6, v3, vcc_lo
	v_add_co_u32 v2, vcc_lo, s11, v4
	s_delay_alu instid0(VALU_DEP_4)
	v_add_co_ci_u32_e32 v3, vcc_lo, s18, v5, vcc_lo
	v_add_co_u32 v6, vcc_lo, s19, v4
	v_add_co_ci_u32_e32 v7, vcc_lo, s22, v5, vcc_lo
	v_add_co_u32 v4, vcc_lo, v8, v4
	v_add_co_ci_u32_e32 v5, vcc_lo, v9, v5, vcc_lo
	global_load_u16 v8, v[2:3], off
	global_load_u16 v6, v[6:7], off
	;; [unrolled: 1-line block ×3, first 2 shown]
	v_add_co_u32 v2, vcc_lo, v4, s2
	v_add_co_ci_u32_e32 v3, vcc_lo, s3, v5, vcc_lo
	global_load_u16 v9, v[2:3], off
	s_waitcnt vmcnt(3)
	v_lshrrev_b16 v10, 8, v8
	v_and_b32_e32 v8, 0xff, v8
	s_waitcnt vmcnt(1)
	v_and_b32_e32 v12, 0xff, v7
	v_lshrrev_b16 v11, 8, v6
	v_and_b32_e32 v6, 0xff, v6
	v_lshrrev_b16 v7, 8, v7
	v_lshlrev_b32_e32 v8, 16, v8
	v_lshlrev_b32_e32 v12, 16, v12
	s_delay_alu instid0(VALU_DEP_4)
	v_lshlrev_b32_e32 v6, 16, v6
	s_waitcnt vmcnt(0)
	v_and_b32_e32 v13, 0xff, v9
	v_lshl_or_b32 v8, v10, 24, v8
	v_lshl_or_b32 v7, v7, 24, v12
	v_lshrrev_b16 v9, 8, v9
	v_lshl_or_b32 v6, v11, 24, v6
	s_delay_alu instid0(VALU_DEP_3) | instskip(NEXT) | instid1(VALU_DEP_2)
	v_dual_mul_f32 v11, v8, v7 :: v_dual_lshlrev_b32 v10, 16, v13
	v_mul_f32_e32 v7, v6, v7
	s_delay_alu instid0(VALU_DEP_2) | instskip(NEXT) | instid1(VALU_DEP_3)
	v_lshl_or_b32 v9, v9, 24, v10
	v_bfe_u32 v10, v11, 16, 1
	v_cmp_o_f32_e64 s0, v11, v11
	s_delay_alu instid0(VALU_DEP_4) | instskip(NEXT) | instid1(VALU_DEP_4)
	v_cmp_o_f32_e32 vcc_lo, v7, v7
	v_mul_f32_e32 v6, v6, v9
	v_mul_f32_e32 v8, v8, v9
	v_bfe_u32 v9, v7, 16, 1
	v_add3_u32 v10, v11, v10, 0x7fff
	s_delay_alu instid0(VALU_DEP_3) | instskip(NEXT) | instid1(VALU_DEP_3)
	v_bfe_u32 v13, v8, 16, 1
	v_add3_u32 v9, v7, v9, 0x7fff
	s_delay_alu instid0(VALU_DEP_3) | instskip(NEXT) | instid1(VALU_DEP_3)
	v_lshrrev_b32_e32 v10, 16, v10
	v_add3_u32 v13, v8, v13, 0x7fff
	s_delay_alu instid0(VALU_DEP_3) | instskip(NEXT) | instid1(VALU_DEP_3)
	v_lshrrev_b32_e32 v9, 16, v9
	v_cndmask_b32_e64 v7, 0x7fc0, v10, s0
	v_cmp_o_f32_e64 s0, v8, v8
	s_delay_alu instid0(VALU_DEP_4) | instskip(NEXT) | instid1(VALU_DEP_4)
	v_lshrrev_b32_e32 v11, 16, v13
	v_cndmask_b32_e32 v8, 0x7fc0, v9, vcc_lo
	s_delay_alu instid0(VALU_DEP_4) | instskip(SKIP_3) | instid1(VALU_DEP_4)
	v_and_b32_e32 v9, 0xff, v7
	v_bfe_u32 v12, v6, 16, 1
	v_cmp_o_f32_e32 vcc_lo, v6, v6
	v_lshrrev_b16 v7, 8, v7
	v_lshlrev_b32_e32 v9, 16, v9
	s_delay_alu instid0(VALU_DEP_4) | instskip(NEXT) | instid1(VALU_DEP_2)
	v_add3_u32 v12, v6, v12, 0x7fff
	v_lshl_or_b32 v7, v7, 24, v9
	s_delay_alu instid0(VALU_DEP_2) | instskip(NEXT) | instid1(VALU_DEP_1)
	v_lshrrev_b32_e32 v10, 16, v12
	v_cndmask_b32_e32 v6, 0x7fc0, v10, vcc_lo
	v_cndmask_b32_e64 v10, 0x7fc0, v11, s0
	v_lshrrev_b16 v11, 8, v8
	v_and_b32_e32 v8, 0xff, v8
	v_cmp_le_i32_e32 vcc_lo, s4, v0
	v_and_b32_e32 v12, 0xff, v6
	v_and_b32_e32 v13, 0xff, v10
	v_lshrrev_b16 v6, 8, v6
	v_lshrrev_b16 v10, 8, v10
	v_lshlrev_b32_e32 v8, 16, v8
	v_lshlrev_b32_e32 v12, 16, v12
	s_or_b32 s9, vcc_lo, s9
	s_delay_alu instid0(VALU_DEP_2) | instskip(NEXT) | instid1(VALU_DEP_2)
	v_lshl_or_b32 v8, v11, 24, v8
	v_lshl_or_b32 v6, v6, 24, v12
	s_delay_alu instid0(VALU_DEP_1) | instskip(NEXT) | instid1(VALU_DEP_1)
	v_dual_sub_f32 v6, v7, v6 :: v_dual_lshlrev_b32 v13, 16, v13
	v_lshl_or_b32 v9, v10, 24, v13
	s_delay_alu instid0(VALU_DEP_2) | instskip(NEXT) | instid1(VALU_DEP_2)
	v_cmp_o_f32_e64 s1, v6, v6
	v_add_f32_e32 v7, v8, v9
	v_bfe_u32 v8, v6, 16, 1
	s_delay_alu instid0(VALU_DEP_2) | instskip(NEXT) | instid1(VALU_DEP_2)
	v_bfe_u32 v9, v7, 16, 1
	v_add3_u32 v8, v6, v8, 0x7fff
	v_cmp_o_f32_e64 s0, v7, v7
	s_delay_alu instid0(VALU_DEP_3) | instskip(NEXT) | instid1(VALU_DEP_3)
	v_add3_u32 v9, v7, v9, 0x7fff
	v_lshrrev_b32_e32 v8, 16, v8
	s_delay_alu instid0(VALU_DEP_2) | instskip(NEXT) | instid1(VALU_DEP_2)
	v_lshrrev_b32_e32 v9, 16, v9
	v_cndmask_b32_e64 v6, 0x7fc0, v8, s1
	s_delay_alu instid0(VALU_DEP_2)
	v_cndmask_b32_e64 v7, 0x7fc0, v9, s0
	s_clause 0x1
	global_store_b16 v[4:5], v6, off
	global_store_b16 v[2:3], v7, off
	s_and_not1_b32 exec_lo, exec_lo, s9
	s_cbranch_execnz .LBB21_5
.LBB21_6:
	s_nop 0
	s_sendmsg sendmsg(MSG_DEALLOC_VGPRS)
	s_endpgm
	.section	.rodata,"a",@progbits
	.p2align	6, 0x0
	.amdhsa_kernel _ZN4vllm31batched_rotary_embedding_kernelIN3c108BFloat16ELb1ELb1EEEvPKlPT_S6_PKS5_S8_S4_illiii
		.amdhsa_group_segment_fixed_size 0
		.amdhsa_private_segment_fixed_size 0
		.amdhsa_kernarg_size 344
		.amdhsa_user_sgpr_count 15
		.amdhsa_user_sgpr_dispatch_ptr 0
		.amdhsa_user_sgpr_queue_ptr 0
		.amdhsa_user_sgpr_kernarg_segment_ptr 1
		.amdhsa_user_sgpr_dispatch_id 0
		.amdhsa_user_sgpr_private_segment_size 0
		.amdhsa_wavefront_size32 1
		.amdhsa_uses_dynamic_stack 0
		.amdhsa_enable_private_segment 0
		.amdhsa_system_sgpr_workgroup_id_x 1
		.amdhsa_system_sgpr_workgroup_id_y 0
		.amdhsa_system_sgpr_workgroup_id_z 0
		.amdhsa_system_sgpr_workgroup_info 0
		.amdhsa_system_vgpr_workitem_id 0
		.amdhsa_next_free_vgpr 15
		.amdhsa_next_free_sgpr 30
		.amdhsa_reserve_vcc 1
		.amdhsa_float_round_mode_32 0
		.amdhsa_float_round_mode_16_64 0
		.amdhsa_float_denorm_mode_32 3
		.amdhsa_float_denorm_mode_16_64 3
		.amdhsa_dx10_clamp 1
		.amdhsa_ieee_mode 1
		.amdhsa_fp16_overflow 0
		.amdhsa_workgroup_processor_mode 1
		.amdhsa_memory_ordered 1
		.amdhsa_forward_progress 0
		.amdhsa_shared_vgpr_count 0
		.amdhsa_exception_fp_ieee_invalid_op 0
		.amdhsa_exception_fp_denorm_src 0
		.amdhsa_exception_fp_ieee_div_zero 0
		.amdhsa_exception_fp_ieee_overflow 0
		.amdhsa_exception_fp_ieee_underflow 0
		.amdhsa_exception_fp_ieee_inexact 0
		.amdhsa_exception_int_div_zero 0
	.end_amdhsa_kernel
	.section	.text._ZN4vllm31batched_rotary_embedding_kernelIN3c108BFloat16ELb1ELb1EEEvPKlPT_S6_PKS5_S8_S4_illiii,"axG",@progbits,_ZN4vllm31batched_rotary_embedding_kernelIN3c108BFloat16ELb1ELb1EEEvPKlPT_S6_PKS5_S8_S4_illiii,comdat
.Lfunc_end21:
	.size	_ZN4vllm31batched_rotary_embedding_kernelIN3c108BFloat16ELb1ELb1EEEvPKlPT_S6_PKS5_S8_S4_illiii, .Lfunc_end21-_ZN4vllm31batched_rotary_embedding_kernelIN3c108BFloat16ELb1ELb1EEEvPKlPT_S6_PKS5_S8_S4_illiii
                                        ; -- End function
	.section	.AMDGPU.csdata,"",@progbits
; Kernel info:
; codeLenInByte = 2304
; NumSgprs: 32
; NumVgprs: 15
; ScratchSize: 0
; MemoryBound: 0
; FloatMode: 240
; IeeeMode: 1
; LDSByteSize: 0 bytes/workgroup (compile time only)
; SGPRBlocks: 3
; VGPRBlocks: 1
; NumSGPRsForWavesPerEU: 32
; NumVGPRsForWavesPerEU: 15
; Occupancy: 16
; WaveLimiterHint : 1
; COMPUTE_PGM_RSRC2:SCRATCH_EN: 0
; COMPUTE_PGM_RSRC2:USER_SGPR: 15
; COMPUTE_PGM_RSRC2:TRAP_HANDLER: 0
; COMPUTE_PGM_RSRC2:TGID_X_EN: 1
; COMPUTE_PGM_RSRC2:TGID_Y_EN: 0
; COMPUTE_PGM_RSRC2:TGID_Z_EN: 0
; COMPUTE_PGM_RSRC2:TIDIG_COMP_CNT: 0
	.section	.text._ZN4vllm31batched_rotary_embedding_kernelIN3c108BFloat16ELb1ELb0EEEvPKlPT_S6_PKS5_S8_S4_illiii,"axG",@progbits,_ZN4vllm31batched_rotary_embedding_kernelIN3c108BFloat16ELb1ELb0EEEvPKlPT_S6_PKS5_S8_S4_illiii,comdat
	.protected	_ZN4vllm31batched_rotary_embedding_kernelIN3c108BFloat16ELb1ELb0EEEvPKlPT_S6_PKS5_S8_S4_illiii ; -- Begin function _ZN4vllm31batched_rotary_embedding_kernelIN3c108BFloat16ELb1ELb0EEEvPKlPT_S6_PKS5_S8_S4_illiii
	.globl	_ZN4vllm31batched_rotary_embedding_kernelIN3c108BFloat16ELb1ELb0EEEvPKlPT_S6_PKS5_S8_S4_illiii
	.p2align	8
	.type	_ZN4vllm31batched_rotary_embedding_kernelIN3c108BFloat16ELb1ELb0EEEvPKlPT_S6_PKS5_S8_S4_illiii,@function
_ZN4vllm31batched_rotary_embedding_kernelIN3c108BFloat16ELb1ELb0EEEvPKlPT_S6_PKS5_S8_S4_illiii: ; @_ZN4vllm31batched_rotary_embedding_kernelIN3c108BFloat16ELb1ELb0EEEvPKlPT_S6_PKS5_S8_S4_illiii
; %bb.0:
	s_mov_b32 s20, s15
	s_clause 0x2
	s_load_b32 s22, s[0:1], 0x30
	s_load_b64 s[2:3], s[0:1], 0x0
	s_load_b256 s[12:19], s[0:1], 0x10
	s_ashr_i32 s21, s20, 31
	s_delay_alu instid0(SALU_CYCLE_1)
	s_lshl_b64 s[4:5], s[20:21], 3
	s_waitcnt lgkmcnt(0)
	s_ashr_i32 s23, s22, 31
	s_add_u32 s2, s2, s4
	s_addc_u32 s3, s3, s5
	s_add_u32 s4, s18, s4
	s_addc_u32 s5, s19, s5
	s_load_b64 s[2:3], s[2:3], 0x0
	s_load_b64 s[18:19], s[4:5], 0x0
	s_load_b256 s[4:11], s[0:1], 0x38
	s_waitcnt lgkmcnt(0)
	s_add_u32 s2, s18, s2
	s_addc_u32 s3, s19, s3
	s_mul_i32 s11, s2, s23
	s_mul_hi_u32 s18, s2, s22
	s_mul_i32 s3, s3, s22
	s_add_i32 s11, s18, s11
	s_mul_i32 s2, s2, s22
	s_add_i32 s11, s11, s3
	s_mov_b32 s19, exec_lo
	s_lshr_b32 s3, s11, 31
	s_delay_alu instid0(SALU_CYCLE_1) | instskip(SKIP_2) | instid1(SALU_CYCLE_1)
	s_add_u32 s2, s2, s3
	s_addc_u32 s3, s11, 0
	s_and_b32 s2, s2, -2
	s_add_u32 s11, s14, s2
	s_addc_u32 s18, s15, s3
	s_add_u32 s16, s16, s2
	s_addc_u32 s17, s17, s3
	s_lshr_b32 s2, s22, 31
	s_delay_alu instid0(SALU_CYCLE_1) | instskip(NEXT) | instid1(SALU_CYCLE_1)
	s_add_i32 s22, s22, s2
	s_ashr_i32 s14, s22, 1
	s_mov_b32 s22, 0
	s_mul_i32 s8, s14, s8
	s_delay_alu instid0(SALU_CYCLE_1)
	v_cmpx_gt_i32_e64 s8, v0
	s_cbranch_execz .LBB22_3
; %bb.1:
	s_load_b64 s[2:3], s[0:1], 0x8
	s_mul_i32 s5, s20, s5
	s_mul_hi_u32 s15, s20, s4
	s_mul_i32 s23, s21, s4
	s_add_i32 s5, s15, s5
	s_load_b32 s15, s[0:1], 0x64
	s_mul_i32 s4, s20, s4
	s_add_i32 s5, s5, s23
	s_delay_alu instid0(SALU_CYCLE_1)
	s_lshl_b64 s[4:5], s[4:5], 1
	s_waitcnt lgkmcnt(0)
	s_add_u32 s23, s2, s4
	s_addc_u32 s24, s3, s5
	s_abs_i32 s25, s14
	s_sub_i32 s27, 0, s14
	v_cvt_f32_u32_e32 v1, s25
	s_sub_i32 s2, 0, s25
	s_and_b32 s26, s15, 0xffff
	s_ashr_i32 s15, s14, 31
	s_delay_alu instid0(VALU_DEP_1) | instskip(SKIP_3) | instid1(VALU_DEP_1)
	v_rcp_iflag_f32_e32 v1, v1
	s_lshl_b64 s[4:5], s[14:15], 1
	s_waitcnt_depctr 0xfff
	v_mul_f32_e32 v1, 0x4f7ffffe, v1
	v_cvt_u32_f32_e32 v1, v1
	s_delay_alu instid0(VALU_DEP_1) | instskip(NEXT) | instid1(VALU_DEP_1)
	v_mul_lo_u32 v2, s2, v1
	v_mul_hi_u32 v2, v1, v2
	s_delay_alu instid0(VALU_DEP_1)
	v_dual_mov_b32 v1, v0 :: v_dual_add_nc_u32 v2, v1, v2
.LBB22_2:                               ; =>This Inner Loop Header: Depth=1
	s_delay_alu instid0(VALU_DEP_1) | instskip(SKIP_1) | instid1(VALU_DEP_2)
	v_sub_nc_u32_e32 v3, 0, v1
	v_ashrrev_i32_e32 v4, 31, v1
	v_max_i32_e32 v3, v1, v3
	s_delay_alu instid0(VALU_DEP_2) | instskip(NEXT) | instid1(VALU_DEP_2)
	v_xor_b32_e32 v4, s15, v4
	v_mul_hi_u32 v5, v3, v2
	s_delay_alu instid0(VALU_DEP_1) | instskip(SKIP_1) | instid1(VALU_DEP_2)
	v_mul_lo_u32 v6, v5, s25
	v_add_nc_u32_e32 v7, 1, v5
	v_sub_nc_u32_e32 v3, v3, v6
	s_delay_alu instid0(VALU_DEP_1) | instskip(SKIP_1) | instid1(VALU_DEP_4)
	v_subrev_nc_u32_e32 v6, s25, v3
	v_cmp_le_u32_e32 vcc_lo, s25, v3
	v_cndmask_b32_e32 v5, v5, v7, vcc_lo
	s_delay_alu instid0(VALU_DEP_1) | instskip(NEXT) | instid1(VALU_DEP_1)
	v_dual_cndmask_b32 v3, v3, v6 :: v_dual_add_nc_u32 v6, 1, v5
	v_cmp_le_u32_e32 vcc_lo, s25, v3
	s_delay_alu instid0(VALU_DEP_2) | instskip(NEXT) | instid1(VALU_DEP_1)
	v_cndmask_b32_e32 v3, v5, v6, vcc_lo
	v_xor_b32_e32 v3, v3, v4
	s_delay_alu instid0(VALU_DEP_1) | instskip(NEXT) | instid1(VALU_DEP_1)
	v_sub_nc_u32_e32 v4, v3, v4
	v_mul_lo_u32 v3, v4, s10
	v_mad_u64_u32 v[5:6], null, s27, v4, v[1:2]
	v_add_nc_u32_e32 v1, s26, v1
	s_delay_alu instid0(VALU_DEP_3) | instskip(NEXT) | instid1(VALU_DEP_3)
	v_ashrrev_i32_e32 v4, 31, v3
	v_ashrrev_i32_e32 v6, 31, v5
	s_delay_alu instid0(VALU_DEP_2) | instskip(NEXT) | instid1(VALU_DEP_2)
	v_lshlrev_b64 v[3:4], 1, v[3:4]
	v_lshlrev_b64 v[5:6], 1, v[5:6]
	s_delay_alu instid0(VALU_DEP_2) | instskip(NEXT) | instid1(VALU_DEP_3)
	v_add_co_u32 v9, vcc_lo, s23, v3
	v_add_co_ci_u32_e32 v10, vcc_lo, s24, v4, vcc_lo
	s_delay_alu instid0(VALU_DEP_3) | instskip(NEXT) | instid1(VALU_DEP_4)
	v_add_co_u32 v3, vcc_lo, s11, v5
	v_add_co_ci_u32_e32 v4, vcc_lo, s18, v6, vcc_lo
	v_add_co_u32 v7, vcc_lo, s16, v5
	v_add_co_ci_u32_e32 v8, vcc_lo, s17, v6, vcc_lo
	;; [unrolled: 2-line block ×3, first 2 shown]
	global_load_u16 v9, v[3:4], off
	global_load_u16 v7, v[7:8], off
	;; [unrolled: 1-line block ×3, first 2 shown]
	v_add_co_u32 v3, vcc_lo, v5, s4
	v_add_co_ci_u32_e32 v4, vcc_lo, s5, v6, vcc_lo
	global_load_u16 v10, v[3:4], off
	s_waitcnt vmcnt(3)
	v_lshrrev_b16 v11, 8, v9
	v_and_b32_e32 v9, 0xff, v9
	s_waitcnt vmcnt(1)
	v_and_b32_e32 v13, 0xff, v8
	v_lshrrev_b16 v12, 8, v7
	v_and_b32_e32 v7, 0xff, v7
	v_lshrrev_b16 v8, 8, v8
	v_lshlrev_b32_e32 v9, 16, v9
	v_lshlrev_b32_e32 v13, 16, v13
	s_delay_alu instid0(VALU_DEP_4)
	v_lshlrev_b32_e32 v7, 16, v7
	s_waitcnt vmcnt(0)
	v_and_b32_e32 v14, 0xff, v10
	v_lshl_or_b32 v9, v11, 24, v9
	v_lshl_or_b32 v8, v8, 24, v13
	v_lshrrev_b16 v10, 8, v10
	v_lshl_or_b32 v7, v12, 24, v7
	s_delay_alu instid0(VALU_DEP_3) | instskip(NEXT) | instid1(VALU_DEP_2)
	v_dual_mul_f32 v12, v9, v8 :: v_dual_lshlrev_b32 v11, 16, v14
	v_mul_f32_e32 v8, v7, v8
	s_delay_alu instid0(VALU_DEP_2) | instskip(NEXT) | instid1(VALU_DEP_3)
	v_lshl_or_b32 v10, v10, 24, v11
	v_bfe_u32 v11, v12, 16, 1
	v_cmp_o_f32_e64 s2, v12, v12
	s_delay_alu instid0(VALU_DEP_4) | instskip(NEXT) | instid1(VALU_DEP_4)
	v_cmp_o_f32_e32 vcc_lo, v8, v8
	v_mul_f32_e32 v7, v7, v10
	v_mul_f32_e32 v9, v9, v10
	v_bfe_u32 v10, v8, 16, 1
	v_add3_u32 v11, v12, v11, 0x7fff
	s_delay_alu instid0(VALU_DEP_3) | instskip(NEXT) | instid1(VALU_DEP_3)
	v_bfe_u32 v14, v9, 16, 1
	v_add3_u32 v10, v8, v10, 0x7fff
	s_delay_alu instid0(VALU_DEP_3) | instskip(NEXT) | instid1(VALU_DEP_3)
	v_lshrrev_b32_e32 v11, 16, v11
	v_add3_u32 v14, v9, v14, 0x7fff
	s_delay_alu instid0(VALU_DEP_3) | instskip(NEXT) | instid1(VALU_DEP_3)
	v_lshrrev_b32_e32 v10, 16, v10
	v_cndmask_b32_e64 v8, 0x7fc0, v11, s2
	v_cmp_o_f32_e64 s2, v9, v9
	s_delay_alu instid0(VALU_DEP_4) | instskip(NEXT) | instid1(VALU_DEP_4)
	v_lshrrev_b32_e32 v12, 16, v14
	v_cndmask_b32_e32 v9, 0x7fc0, v10, vcc_lo
	s_delay_alu instid0(VALU_DEP_4) | instskip(SKIP_3) | instid1(VALU_DEP_4)
	v_and_b32_e32 v10, 0xff, v8
	v_bfe_u32 v13, v7, 16, 1
	v_cmp_o_f32_e32 vcc_lo, v7, v7
	v_lshrrev_b16 v8, 8, v8
	v_lshlrev_b32_e32 v10, 16, v10
	s_delay_alu instid0(VALU_DEP_4) | instskip(NEXT) | instid1(VALU_DEP_2)
	v_add3_u32 v13, v7, v13, 0x7fff
	v_lshl_or_b32 v8, v8, 24, v10
	s_delay_alu instid0(VALU_DEP_2) | instskip(NEXT) | instid1(VALU_DEP_1)
	v_lshrrev_b32_e32 v11, 16, v13
	v_cndmask_b32_e32 v7, 0x7fc0, v11, vcc_lo
	v_cndmask_b32_e64 v11, 0x7fc0, v12, s2
	v_lshrrev_b16 v12, 8, v9
	v_and_b32_e32 v9, 0xff, v9
	v_cmp_le_i32_e32 vcc_lo, s8, v1
	v_and_b32_e32 v13, 0xff, v7
	v_and_b32_e32 v14, 0xff, v11
	v_lshrrev_b16 v7, 8, v7
	v_lshrrev_b16 v11, 8, v11
	v_lshlrev_b32_e32 v9, 16, v9
	v_lshlrev_b32_e32 v13, 16, v13
	s_or_b32 s22, vcc_lo, s22
	s_delay_alu instid0(VALU_DEP_2) | instskip(NEXT) | instid1(VALU_DEP_2)
	v_lshl_or_b32 v9, v12, 24, v9
	v_lshl_or_b32 v7, v7, 24, v13
	s_delay_alu instid0(VALU_DEP_1) | instskip(NEXT) | instid1(VALU_DEP_1)
	v_dual_sub_f32 v7, v8, v7 :: v_dual_lshlrev_b32 v14, 16, v14
	v_lshl_or_b32 v10, v11, 24, v14
	s_delay_alu instid0(VALU_DEP_2) | instskip(NEXT) | instid1(VALU_DEP_2)
	v_cmp_o_f32_e64 s3, v7, v7
	v_add_f32_e32 v8, v9, v10
	v_bfe_u32 v9, v7, 16, 1
	s_delay_alu instid0(VALU_DEP_2) | instskip(NEXT) | instid1(VALU_DEP_2)
	v_bfe_u32 v10, v8, 16, 1
	v_add3_u32 v9, v7, v9, 0x7fff
	v_cmp_o_f32_e64 s2, v8, v8
	s_delay_alu instid0(VALU_DEP_3) | instskip(NEXT) | instid1(VALU_DEP_3)
	v_add3_u32 v10, v8, v10, 0x7fff
	v_lshrrev_b32_e32 v9, 16, v9
	s_delay_alu instid0(VALU_DEP_2) | instskip(NEXT) | instid1(VALU_DEP_2)
	v_lshrrev_b32_e32 v10, 16, v10
	v_cndmask_b32_e64 v7, 0x7fc0, v9, s3
	s_delay_alu instid0(VALU_DEP_2)
	v_cndmask_b32_e64 v8, 0x7fc0, v10, s2
	s_clause 0x1
	global_store_b16 v[5:6], v7, off
	global_store_b16 v[3:4], v8, off
	s_and_not1_b32 exec_lo, exec_lo, s22
	s_cbranch_execnz .LBB22_2
.LBB22_3:
	s_or_b32 exec_lo, exec_lo, s19
	s_mul_i32 s4, s14, s9
	s_mov_b32 s2, exec_lo
	v_cmpx_gt_i32_e64 s4, v0
	s_cbranch_execz .LBB22_6
; %bb.4:
	s_mul_i32 s2, s20, s7
	s_mul_hi_u32 s3, s20, s6
	s_mul_i32 s5, s21, s6
	s_add_i32 s3, s3, s2
	s_mul_i32 s2, s20, s6
	s_add_i32 s3, s3, s5
	s_load_b32 s0, s[0:1], 0x64
	s_lshl_b64 s[2:3], s[2:3], 1
	s_mov_b32 s9, 0
	s_add_u32 s5, s12, s2
	s_addc_u32 s6, s13, s3
	s_abs_i32 s7, s14
	s_ashr_i32 s15, s14, 31
	v_cvt_f32_u32_e32 v1, s7
	s_sub_i32 s1, 0, s7
	s_sub_i32 s12, 0, s14
	s_lshl_b64 s[2:3], s[14:15], 1
	s_delay_alu instid0(VALU_DEP_1) | instskip(SKIP_4) | instid1(VALU_DEP_1)
	v_rcp_iflag_f32_e32 v1, v1
	s_waitcnt lgkmcnt(0)
	s_and_b32 s8, s0, 0xffff
	s_waitcnt_depctr 0xfff
	v_mul_f32_e32 v1, 0x4f7ffffe, v1
	v_cvt_u32_f32_e32 v1, v1
	s_delay_alu instid0(VALU_DEP_1) | instskip(NEXT) | instid1(VALU_DEP_1)
	v_mul_lo_u32 v2, s1, v1
	v_mul_hi_u32 v2, v1, v2
	s_delay_alu instid0(VALU_DEP_1)
	v_add_nc_u32_e32 v1, v1, v2
.LBB22_5:                               ; =>This Inner Loop Header: Depth=1
	v_sub_nc_u32_e32 v2, 0, v0
	v_ashrrev_i32_e32 v3, 31, v0
	s_delay_alu instid0(VALU_DEP_2) | instskip(NEXT) | instid1(VALU_DEP_2)
	v_max_i32_e32 v2, v0, v2
	v_xor_b32_e32 v3, s15, v3
	s_delay_alu instid0(VALU_DEP_2) | instskip(NEXT) | instid1(VALU_DEP_1)
	v_mul_hi_u32 v4, v2, v1
	v_mul_lo_u32 v5, v4, s7
	v_add_nc_u32_e32 v6, 1, v4
	s_delay_alu instid0(VALU_DEP_2) | instskip(NEXT) | instid1(VALU_DEP_1)
	v_sub_nc_u32_e32 v2, v2, v5
	v_subrev_nc_u32_e32 v5, s7, v2
	v_cmp_le_u32_e32 vcc_lo, s7, v2
	s_delay_alu instid0(VALU_DEP_4) | instskip(NEXT) | instid1(VALU_DEP_1)
	v_cndmask_b32_e32 v4, v4, v6, vcc_lo
	v_dual_cndmask_b32 v2, v2, v5 :: v_dual_add_nc_u32 v5, 1, v4
	s_delay_alu instid0(VALU_DEP_1) | instskip(NEXT) | instid1(VALU_DEP_2)
	v_cmp_le_u32_e32 vcc_lo, s7, v2
	v_cndmask_b32_e32 v2, v4, v5, vcc_lo
	s_delay_alu instid0(VALU_DEP_1) | instskip(NEXT) | instid1(VALU_DEP_1)
	v_xor_b32_e32 v2, v2, v3
	v_sub_nc_u32_e32 v3, v2, v3
	s_delay_alu instid0(VALU_DEP_1) | instskip(SKIP_2) | instid1(VALU_DEP_3)
	v_mul_lo_u32 v2, v3, s10
	v_mad_u64_u32 v[4:5], null, s12, v3, v[0:1]
	v_add_nc_u32_e32 v0, s8, v0
	v_ashrrev_i32_e32 v3, 31, v2
	s_delay_alu instid0(VALU_DEP_3) | instskip(NEXT) | instid1(VALU_DEP_2)
	v_ashrrev_i32_e32 v5, 31, v4
	v_lshlrev_b64 v[2:3], 1, v[2:3]
	s_delay_alu instid0(VALU_DEP_2) | instskip(NEXT) | instid1(VALU_DEP_2)
	v_lshlrev_b64 v[4:5], 1, v[4:5]
	v_add_co_u32 v8, vcc_lo, s5, v2
	s_delay_alu instid0(VALU_DEP_3) | instskip(NEXT) | instid1(VALU_DEP_3)
	v_add_co_ci_u32_e32 v9, vcc_lo, s6, v3, vcc_lo
	v_add_co_u32 v2, vcc_lo, s11, v4
	s_delay_alu instid0(VALU_DEP_4)
	v_add_co_ci_u32_e32 v3, vcc_lo, s18, v5, vcc_lo
	v_add_co_u32 v6, vcc_lo, s16, v4
	v_add_co_ci_u32_e32 v7, vcc_lo, s17, v5, vcc_lo
	v_add_co_u32 v4, vcc_lo, v8, v4
	v_add_co_ci_u32_e32 v5, vcc_lo, v9, v5, vcc_lo
	global_load_u16 v8, v[2:3], off
	global_load_u16 v6, v[6:7], off
	global_load_u16 v7, v[4:5], off
	v_add_co_u32 v2, vcc_lo, v4, s2
	v_add_co_ci_u32_e32 v3, vcc_lo, s3, v5, vcc_lo
	global_load_u16 v9, v[2:3], off
	s_waitcnt vmcnt(3)
	v_lshrrev_b16 v10, 8, v8
	v_and_b32_e32 v8, 0xff, v8
	s_waitcnt vmcnt(1)
	v_and_b32_e32 v12, 0xff, v7
	v_lshrrev_b16 v11, 8, v6
	v_and_b32_e32 v6, 0xff, v6
	v_lshrrev_b16 v7, 8, v7
	v_lshlrev_b32_e32 v8, 16, v8
	v_lshlrev_b32_e32 v12, 16, v12
	s_delay_alu instid0(VALU_DEP_4)
	v_lshlrev_b32_e32 v6, 16, v6
	s_waitcnt vmcnt(0)
	v_and_b32_e32 v13, 0xff, v9
	v_lshl_or_b32 v8, v10, 24, v8
	v_lshl_or_b32 v7, v7, 24, v12
	v_lshrrev_b16 v9, 8, v9
	v_lshl_or_b32 v6, v11, 24, v6
	s_delay_alu instid0(VALU_DEP_3) | instskip(NEXT) | instid1(VALU_DEP_2)
	v_dual_mul_f32 v11, v8, v7 :: v_dual_lshlrev_b32 v10, 16, v13
	v_mul_f32_e32 v7, v6, v7
	s_delay_alu instid0(VALU_DEP_2) | instskip(NEXT) | instid1(VALU_DEP_3)
	v_lshl_or_b32 v9, v9, 24, v10
	v_bfe_u32 v10, v11, 16, 1
	v_cmp_o_f32_e64 s0, v11, v11
	s_delay_alu instid0(VALU_DEP_4) | instskip(NEXT) | instid1(VALU_DEP_4)
	v_cmp_o_f32_e32 vcc_lo, v7, v7
	v_mul_f32_e32 v6, v6, v9
	v_mul_f32_e32 v8, v8, v9
	v_bfe_u32 v9, v7, 16, 1
	v_add3_u32 v10, v11, v10, 0x7fff
	s_delay_alu instid0(VALU_DEP_3) | instskip(NEXT) | instid1(VALU_DEP_3)
	v_bfe_u32 v13, v8, 16, 1
	v_add3_u32 v9, v7, v9, 0x7fff
	s_delay_alu instid0(VALU_DEP_3) | instskip(NEXT) | instid1(VALU_DEP_3)
	v_lshrrev_b32_e32 v10, 16, v10
	v_add3_u32 v13, v8, v13, 0x7fff
	s_delay_alu instid0(VALU_DEP_3) | instskip(NEXT) | instid1(VALU_DEP_3)
	v_lshrrev_b32_e32 v9, 16, v9
	v_cndmask_b32_e64 v7, 0x7fc0, v10, s0
	v_cmp_o_f32_e64 s0, v8, v8
	s_delay_alu instid0(VALU_DEP_4) | instskip(NEXT) | instid1(VALU_DEP_4)
	v_lshrrev_b32_e32 v11, 16, v13
	v_cndmask_b32_e32 v8, 0x7fc0, v9, vcc_lo
	s_delay_alu instid0(VALU_DEP_4) | instskip(SKIP_3) | instid1(VALU_DEP_4)
	v_and_b32_e32 v9, 0xff, v7
	v_bfe_u32 v12, v6, 16, 1
	v_cmp_o_f32_e32 vcc_lo, v6, v6
	v_lshrrev_b16 v7, 8, v7
	v_lshlrev_b32_e32 v9, 16, v9
	s_delay_alu instid0(VALU_DEP_4) | instskip(NEXT) | instid1(VALU_DEP_2)
	v_add3_u32 v12, v6, v12, 0x7fff
	v_lshl_or_b32 v7, v7, 24, v9
	s_delay_alu instid0(VALU_DEP_2) | instskip(NEXT) | instid1(VALU_DEP_1)
	v_lshrrev_b32_e32 v10, 16, v12
	v_cndmask_b32_e32 v6, 0x7fc0, v10, vcc_lo
	v_cndmask_b32_e64 v10, 0x7fc0, v11, s0
	v_lshrrev_b16 v11, 8, v8
	v_and_b32_e32 v8, 0xff, v8
	v_cmp_le_i32_e32 vcc_lo, s4, v0
	v_and_b32_e32 v12, 0xff, v6
	v_and_b32_e32 v13, 0xff, v10
	v_lshrrev_b16 v6, 8, v6
	v_lshrrev_b16 v10, 8, v10
	v_lshlrev_b32_e32 v8, 16, v8
	v_lshlrev_b32_e32 v12, 16, v12
	s_or_b32 s9, vcc_lo, s9
	s_delay_alu instid0(VALU_DEP_2) | instskip(NEXT) | instid1(VALU_DEP_2)
	v_lshl_or_b32 v8, v11, 24, v8
	v_lshl_or_b32 v6, v6, 24, v12
	s_delay_alu instid0(VALU_DEP_1) | instskip(NEXT) | instid1(VALU_DEP_1)
	v_dual_sub_f32 v6, v7, v6 :: v_dual_lshlrev_b32 v13, 16, v13
	v_lshl_or_b32 v9, v10, 24, v13
	s_delay_alu instid0(VALU_DEP_2) | instskip(NEXT) | instid1(VALU_DEP_2)
	v_cmp_o_f32_e64 s1, v6, v6
	v_add_f32_e32 v7, v8, v9
	v_bfe_u32 v8, v6, 16, 1
	s_delay_alu instid0(VALU_DEP_2) | instskip(NEXT) | instid1(VALU_DEP_2)
	v_bfe_u32 v9, v7, 16, 1
	v_add3_u32 v8, v6, v8, 0x7fff
	v_cmp_o_f32_e64 s0, v7, v7
	s_delay_alu instid0(VALU_DEP_3) | instskip(NEXT) | instid1(VALU_DEP_3)
	v_add3_u32 v9, v7, v9, 0x7fff
	v_lshrrev_b32_e32 v8, 16, v8
	s_delay_alu instid0(VALU_DEP_2) | instskip(NEXT) | instid1(VALU_DEP_2)
	v_lshrrev_b32_e32 v9, 16, v9
	v_cndmask_b32_e64 v6, 0x7fc0, v8, s1
	s_delay_alu instid0(VALU_DEP_2)
	v_cndmask_b32_e64 v7, 0x7fc0, v9, s0
	s_clause 0x1
	global_store_b16 v[4:5], v6, off
	global_store_b16 v[2:3], v7, off
	s_and_not1_b32 exec_lo, exec_lo, s9
	s_cbranch_execnz .LBB22_5
.LBB22_6:
	s_nop 0
	s_sendmsg sendmsg(MSG_DEALLOC_VGPRS)
	s_endpgm
	.section	.rodata,"a",@progbits
	.p2align	6, 0x0
	.amdhsa_kernel _ZN4vllm31batched_rotary_embedding_kernelIN3c108BFloat16ELb1ELb0EEEvPKlPT_S6_PKS5_S8_S4_illiii
		.amdhsa_group_segment_fixed_size 0
		.amdhsa_private_segment_fixed_size 0
		.amdhsa_kernarg_size 344
		.amdhsa_user_sgpr_count 15
		.amdhsa_user_sgpr_dispatch_ptr 0
		.amdhsa_user_sgpr_queue_ptr 0
		.amdhsa_user_sgpr_kernarg_segment_ptr 1
		.amdhsa_user_sgpr_dispatch_id 0
		.amdhsa_user_sgpr_private_segment_size 0
		.amdhsa_wavefront_size32 1
		.amdhsa_uses_dynamic_stack 0
		.amdhsa_enable_private_segment 0
		.amdhsa_system_sgpr_workgroup_id_x 1
		.amdhsa_system_sgpr_workgroup_id_y 0
		.amdhsa_system_sgpr_workgroup_id_z 0
		.amdhsa_system_sgpr_workgroup_info 0
		.amdhsa_system_vgpr_workitem_id 0
		.amdhsa_next_free_vgpr 15
		.amdhsa_next_free_sgpr 28
		.amdhsa_reserve_vcc 1
		.amdhsa_float_round_mode_32 0
		.amdhsa_float_round_mode_16_64 0
		.amdhsa_float_denorm_mode_32 3
		.amdhsa_float_denorm_mode_16_64 3
		.amdhsa_dx10_clamp 1
		.amdhsa_ieee_mode 1
		.amdhsa_fp16_overflow 0
		.amdhsa_workgroup_processor_mode 1
		.amdhsa_memory_ordered 1
		.amdhsa_forward_progress 0
		.amdhsa_shared_vgpr_count 0
		.amdhsa_exception_fp_ieee_invalid_op 0
		.amdhsa_exception_fp_denorm_src 0
		.amdhsa_exception_fp_ieee_div_zero 0
		.amdhsa_exception_fp_ieee_overflow 0
		.amdhsa_exception_fp_ieee_underflow 0
		.amdhsa_exception_fp_ieee_inexact 0
		.amdhsa_exception_int_div_zero 0
	.end_amdhsa_kernel
	.section	.text._ZN4vllm31batched_rotary_embedding_kernelIN3c108BFloat16ELb1ELb0EEEvPKlPT_S6_PKS5_S8_S4_illiii,"axG",@progbits,_ZN4vllm31batched_rotary_embedding_kernelIN3c108BFloat16ELb1ELb0EEEvPKlPT_S6_PKS5_S8_S4_illiii,comdat
.Lfunc_end22:
	.size	_ZN4vllm31batched_rotary_embedding_kernelIN3c108BFloat16ELb1ELb0EEEvPKlPT_S6_PKS5_S8_S4_illiii, .Lfunc_end22-_ZN4vllm31batched_rotary_embedding_kernelIN3c108BFloat16ELb1ELb0EEEvPKlPT_S6_PKS5_S8_S4_illiii
                                        ; -- End function
	.section	.AMDGPU.csdata,"",@progbits
; Kernel info:
; codeLenInByte = 2272
; NumSgprs: 30
; NumVgprs: 15
; ScratchSize: 0
; MemoryBound: 0
; FloatMode: 240
; IeeeMode: 1
; LDSByteSize: 0 bytes/workgroup (compile time only)
; SGPRBlocks: 3
; VGPRBlocks: 1
; NumSGPRsForWavesPerEU: 30
; NumVGPRsForWavesPerEU: 15
; Occupancy: 16
; WaveLimiterHint : 1
; COMPUTE_PGM_RSRC2:SCRATCH_EN: 0
; COMPUTE_PGM_RSRC2:USER_SGPR: 15
; COMPUTE_PGM_RSRC2:TRAP_HANDLER: 0
; COMPUTE_PGM_RSRC2:TGID_X_EN: 1
; COMPUTE_PGM_RSRC2:TGID_Y_EN: 0
; COMPUTE_PGM_RSRC2:TGID_Z_EN: 0
; COMPUTE_PGM_RSRC2:TIDIG_COMP_CNT: 0
	.section	.text._ZN4vllm31batched_rotary_embedding_kernelIN3c108BFloat16ELb0ELb1EEEvPKlPT_S6_PKS5_S8_S4_illiii,"axG",@progbits,_ZN4vllm31batched_rotary_embedding_kernelIN3c108BFloat16ELb0ELb1EEEvPKlPT_S6_PKS5_S8_S4_illiii,comdat
	.protected	_ZN4vllm31batched_rotary_embedding_kernelIN3c108BFloat16ELb0ELb1EEEvPKlPT_S6_PKS5_S8_S4_illiii ; -- Begin function _ZN4vllm31batched_rotary_embedding_kernelIN3c108BFloat16ELb0ELb1EEEvPKlPT_S6_PKS5_S8_S4_illiii
	.globl	_ZN4vllm31batched_rotary_embedding_kernelIN3c108BFloat16ELb0ELb1EEEvPKlPT_S6_PKS5_S8_S4_illiii
	.p2align	8
	.type	_ZN4vllm31batched_rotary_embedding_kernelIN3c108BFloat16ELb0ELb1EEEvPKlPT_S6_PKS5_S8_S4_illiii,@function
_ZN4vllm31batched_rotary_embedding_kernelIN3c108BFloat16ELb0ELb1EEEvPKlPT_S6_PKS5_S8_S4_illiii: ; @_ZN4vllm31batched_rotary_embedding_kernelIN3c108BFloat16ELb0ELb1EEEvPKlPT_S6_PKS5_S8_S4_illiii
; %bb.0:
	s_mov_b32 s20, s15
	s_clause 0x2
	s_load_b32 s22, s[0:1], 0x30
	s_load_b64 s[2:3], s[0:1], 0x0
	s_load_b256 s[12:19], s[0:1], 0x10
	s_ashr_i32 s21, s20, 31
	v_lshlrev_b32_e32 v1, 1, v0
	s_lshl_b64 s[4:5], s[20:21], 3
	s_waitcnt lgkmcnt(0)
	s_ashr_i32 s23, s22, 31
	s_add_u32 s2, s2, s4
	s_addc_u32 s3, s3, s5
	s_add_u32 s4, s18, s4
	s_addc_u32 s5, s19, s5
	s_load_b64 s[2:3], s[2:3], 0x0
	s_load_b64 s[18:19], s[4:5], 0x0
	s_load_b256 s[4:11], s[0:1], 0x38
	s_waitcnt lgkmcnt(0)
	s_add_u32 s2, s18, s2
	s_addc_u32 s3, s19, s3
	s_mul_i32 s11, s2, s23
	s_mul_hi_u32 s18, s2, s22
	s_mul_i32 s3, s3, s22
	s_add_i32 s11, s18, s11
	s_mul_i32 s2, s2, s22
	s_add_i32 s11, s11, s3
	s_mov_b32 s19, 0
	s_lshr_b32 s3, s11, 31
	s_delay_alu instid0(SALU_CYCLE_1) | instskip(SKIP_2) | instid1(SALU_CYCLE_1)
	s_add_u32 s2, s2, s3
	s_addc_u32 s18, s11, 0
	s_and_b32 s2, s2, -2
	s_add_u32 s3, s14, s2
	s_addc_u32 s11, s15, s18
	s_add_u32 s16, s16, s2
	s_addc_u32 s17, s17, s18
	s_lshr_b32 s2, s22, 31
	s_sub_i32 s14, s10, s22
	s_add_i32 s2, s22, s2
	s_ashr_i32 s15, s14, 31
	s_ashr_i32 s18, s2, 1
	s_mov_b32 s22, exec_lo
	s_mul_i32 s8, s18, s8
	s_delay_alu instid0(SALU_CYCLE_1)
	v_cmpx_gt_i32_e64 s8, v0
	s_cbranch_execz .LBB23_3
; %bb.1:
	s_clause 0x1
	s_load_b64 s[24:25], s[0:1], 0x8
	s_load_b32 s28, s[0:1], 0x64
	s_lshl_b64 s[26:27], s[14:15], 1
	s_mul_i32 s2, s20, s5
	s_mul_hi_u32 s5, s20, s4
	s_mul_i32 s23, s21, s4
	s_mul_i32 s4, s20, s4
	s_waitcnt lgkmcnt(0)
	s_add_u32 s24, s24, s26
	s_addc_u32 s25, s25, s27
	s_add_i32 s2, s5, s2
	s_delay_alu instid0(SALU_CYCLE_1) | instskip(NEXT) | instid1(SALU_CYCLE_1)
	s_add_i32 s5, s2, s23
	s_lshl_b64 s[4:5], s[4:5], 1
	s_delay_alu instid0(SALU_CYCLE_1)
	s_add_u32 s4, s24, s4
	s_addc_u32 s5, s25, s5
	s_abs_i32 s23, s18
	s_and_b32 s24, s28, 0xffff
	v_cvt_f32_u32_e32 v2, s23
	s_sub_i32 s2, 0, s23
	s_ashr_i32 s25, s18, 31
	s_lshl_b32 s27, s24, 1
	s_sub_i32 s28, 0, s18
	v_rcp_iflag_f32_e32 v2, v2
	s_waitcnt_depctr 0xfff
	v_mul_f32_e32 v2, 0x4f7ffffe, v2
	s_delay_alu instid0(VALU_DEP_1) | instskip(NEXT) | instid1(VALU_DEP_1)
	v_cvt_u32_f32_e32 v3, v2
	v_mul_lo_u32 v2, s2, v3
	s_lshl_b32 s2, s18, 1
	s_delay_alu instid0(SALU_CYCLE_1) | instskip(NEXT) | instid1(VALU_DEP_1)
	s_sub_i32 s26, 0, s2
	v_mul_hi_u32 v4, v3, v2
	v_lshlrev_b32_e32 v2, 1, v0
	s_delay_alu instid0(VALU_DEP_2)
	v_dual_mov_b32 v3, v0 :: v_dual_add_nc_u32 v4, v3, v4
.LBB23_2:                               ; =>This Inner Loop Header: Depth=1
	s_delay_alu instid0(VALU_DEP_1) | instskip(SKIP_1) | instid1(VALU_DEP_2)
	v_sub_nc_u32_e32 v5, 0, v3
	v_ashrrev_i32_e32 v6, 31, v3
	v_max_i32_e32 v5, v3, v5
	s_delay_alu instid0(VALU_DEP_2) | instskip(NEXT) | instid1(VALU_DEP_2)
	v_xor_b32_e32 v6, s25, v6
	v_mul_hi_u32 v7, v5, v4
	s_delay_alu instid0(VALU_DEP_1) | instskip(SKIP_1) | instid1(VALU_DEP_2)
	v_mul_lo_u32 v8, v7, s23
	v_add_nc_u32_e32 v9, 1, v7
	v_sub_nc_u32_e32 v5, v5, v8
	s_delay_alu instid0(VALU_DEP_1) | instskip(SKIP_1) | instid1(VALU_DEP_4)
	v_subrev_nc_u32_e32 v8, s23, v5
	v_cmp_le_u32_e32 vcc_lo, s23, v5
	v_cndmask_b32_e32 v7, v7, v9, vcc_lo
	s_delay_alu instid0(VALU_DEP_1) | instskip(NEXT) | instid1(VALU_DEP_1)
	v_dual_cndmask_b32 v5, v5, v8 :: v_dual_add_nc_u32 v8, 1, v7
	v_cmp_le_u32_e32 vcc_lo, s23, v5
	s_delay_alu instid0(VALU_DEP_2) | instskip(NEXT) | instid1(VALU_DEP_1)
	v_cndmask_b32_e32 v5, v7, v8, vcc_lo
	v_xor_b32_e32 v5, v5, v6
	s_delay_alu instid0(VALU_DEP_1) | instskip(NEXT) | instid1(VALU_DEP_1)
	v_sub_nc_u32_e32 v6, v5, v6
	v_mul_lo_u32 v5, v6, s10
	v_mad_u64_u32 v[7:8], null, s28, v6, v[3:4]
	v_mad_u64_u32 v[9:10], null, s26, v6, v[2:3]
	v_add_nc_u32_e32 v3, s24, v3
	v_add_nc_u32_e32 v2, s27, v2
	v_ashrrev_i32_e32 v6, 31, v5
	v_ashrrev_i32_e32 v8, 31, v7
	;; [unrolled: 1-line block ×3, first 2 shown]
	s_delay_alu instid0(VALU_DEP_3) | instskip(NEXT) | instid1(VALU_DEP_3)
	v_lshlrev_b64 v[5:6], 1, v[5:6]
	v_lshlrev_b64 v[7:8], 1, v[7:8]
	s_delay_alu instid0(VALU_DEP_3) | instskip(NEXT) | instid1(VALU_DEP_3)
	v_lshlrev_b64 v[9:10], 1, v[9:10]
	v_add_co_u32 v11, vcc_lo, s4, v5
	s_delay_alu instid0(VALU_DEP_4) | instskip(NEXT) | instid1(VALU_DEP_4)
	v_add_co_ci_u32_e32 v12, vcc_lo, s5, v6, vcc_lo
	v_add_co_u32 v5, vcc_lo, s3, v7
	v_add_co_ci_u32_e32 v6, vcc_lo, s11, v8, vcc_lo
	v_add_co_u32 v7, vcc_lo, s16, v7
	v_add_co_ci_u32_e32 v8, vcc_lo, s17, v8, vcc_lo
	v_add_co_u32 v9, vcc_lo, v11, v9
	v_add_co_ci_u32_e32 v10, vcc_lo, v12, v10, vcc_lo
	global_load_u16 v5, v[5:6], off
	global_load_b32 v6, v[9:10], off
	global_load_u16 v7, v[7:8], off
	s_waitcnt vmcnt(2)
	v_lshrrev_b16 v8, 8, v5
	s_waitcnt vmcnt(1)
	v_lshrrev_b32_e32 v13, 16, v6
	s_waitcnt vmcnt(0)
	v_lshrrev_b16 v11, 8, v7
	v_and_b32_e32 v7, 0xff, v7
	v_and_b32_e32 v12, 0xff, v6
	v_lshrrev_b16 v14, 8, v6
	v_and_b32_e32 v13, 0xff, v13
	s_delay_alu instid0(VALU_DEP_4) | instskip(NEXT) | instid1(VALU_DEP_1)
	v_lshlrev_b32_e32 v7, 16, v7
	v_lshl_or_b32 v7, v11, 24, v7
	v_and_b32_e32 v5, 0xff, v5
	s_delay_alu instid0(VALU_DEP_4) | instskip(NEXT) | instid1(VALU_DEP_2)
	v_lshlrev_b32_e32 v11, 16, v13
	v_lshlrev_b32_e32 v5, 16, v5
	s_delay_alu instid0(VALU_DEP_2) | instskip(SKIP_1) | instid1(VALU_DEP_3)
	v_and_or_b32 v6, 0xff000000, v6, v11
	v_lshlrev_b32_e32 v12, 16, v12
	v_lshl_or_b32 v5, v8, 24, v5
	s_delay_alu instid0(VALU_DEP_2) | instskip(NEXT) | instid1(VALU_DEP_1)
	v_lshl_or_b32 v8, v14, 24, v12
	v_mul_f32_e32 v12, v5, v8
	v_mul_f32_e32 v8, v7, v8
	;; [unrolled: 1-line block ×4, first 2 shown]
	s_delay_alu instid0(VALU_DEP_4) | instskip(NEXT) | instid1(VALU_DEP_4)
	v_bfe_u32 v11, v12, 16, 1
	v_bfe_u32 v6, v8, 16, 1
	s_delay_alu instid0(VALU_DEP_4) | instskip(NEXT) | instid1(VALU_DEP_4)
	v_bfe_u32 v13, v7, 16, 1
	v_bfe_u32 v14, v5, 16, 1
	v_cmp_o_f32_e32 vcc_lo, v8, v8
	v_add3_u32 v11, v12, v11, 0x7fff
	v_add3_u32 v6, v8, v6, 0x7fff
	;; [unrolled: 1-line block ×4, first 2 shown]
	v_cmp_o_f32_e64 s2, v12, v12
	v_lshrrev_b32_e32 v11, 16, v11
	v_lshrrev_b32_e32 v6, 16, v6
	s_delay_alu instid0(VALU_DEP_4) | instskip(NEXT) | instid1(VALU_DEP_3)
	v_lshrrev_b32_e32 v12, 16, v14
	v_cndmask_b32_e64 v8, 0x7fc0, v11, s2
	v_lshrrev_b32_e32 v11, 16, v13
	v_cmp_o_f32_e64 s2, v5, v5
	v_cndmask_b32_e32 v5, 0x7fc0, v6, vcc_lo
	v_cmp_o_f32_e32 vcc_lo, v7, v7
	v_and_b32_e32 v7, 0xff, v8
	v_lshrrev_b16 v8, 8, v8
	v_cndmask_b32_e32 v6, 0x7fc0, v11, vcc_lo
	v_cndmask_b32_e64 v11, 0x7fc0, v12, s2
	v_lshrrev_b16 v12, 8, v5
	v_and_b32_e32 v5, 0xff, v5
	v_lshlrev_b32_e32 v7, 16, v7
	v_and_b32_e32 v13, 0xff, v6
	v_and_b32_e32 v14, 0xff, v11
	v_lshrrev_b16 v6, 8, v6
	v_lshlrev_b32_e32 v5, 16, v5
	v_lshrrev_b16 v11, 8, v11
	v_lshlrev_b32_e32 v13, 16, v13
	v_lshl_or_b32 v7, v8, 24, v7
	s_delay_alu instid0(VALU_DEP_4) | instskip(SKIP_1) | instid1(VALU_DEP_4)
	v_lshl_or_b32 v5, v12, 24, v5
	v_lshlrev_b32_e32 v14, 16, v14
	v_lshl_or_b32 v6, v6, 24, v13
	s_delay_alu instid0(VALU_DEP_2) | instskip(NEXT) | instid1(VALU_DEP_1)
	v_lshl_or_b32 v8, v11, 24, v14
	v_dual_sub_f32 v6, v7, v6 :: v_dual_add_f32 v5, v5, v8
	s_delay_alu instid0(VALU_DEP_1) | instskip(SKIP_1) | instid1(VALU_DEP_3)
	v_bfe_u32 v7, v6, 16, 1
	v_cmp_o_f32_e64 s2, v6, v6
	v_bfe_u32 v8, v5, 16, 1
	s_delay_alu instid0(VALU_DEP_3) | instskip(SKIP_1) | instid1(VALU_DEP_3)
	v_add3_u32 v7, v6, v7, 0x7fff
	v_cmp_o_f32_e32 vcc_lo, v5, v5
	v_add3_u32 v8, v5, v8, 0x7fff
	s_delay_alu instid0(VALU_DEP_3) | instskip(NEXT) | instid1(VALU_DEP_2)
	v_lshrrev_b32_e32 v7, 16, v7
	v_lshrrev_b32_e32 v8, 16, v8
	s_delay_alu instid0(VALU_DEP_2) | instskip(NEXT) | instid1(VALU_DEP_2)
	v_cndmask_b32_e64 v5, 0x7fc0, v7, s2
	v_cndmask_b32_e32 v6, 0x7fc0, v8, vcc_lo
	v_cmp_le_i32_e32 vcc_lo, s8, v3
	s_delay_alu instid0(VALU_DEP_2)
	v_perm_b32 v5, v6, v5, 0x5040100
	s_or_b32 s19, vcc_lo, s19
	global_store_b32 v[9:10], v5, off
	s_and_not1_b32 exec_lo, exec_lo, s19
	s_cbranch_execnz .LBB23_2
.LBB23_3:
	s_or_b32 exec_lo, exec_lo, s22
	s_mul_i32 s2, s18, s9
	s_mov_b32 s4, exec_lo
	v_cmpx_gt_i32_e64 s2, v0
	s_cbranch_execz .LBB23_6
; %bb.4:
	s_lshl_b64 s[4:5], s[14:15], 1
	s_mul_i32 s7, s20, s7
	s_add_u32 s8, s12, s4
	s_mul_hi_u32 s4, s20, s6
	s_addc_u32 s9, s13, s5
	s_add_i32 s4, s4, s7
	s_mul_i32 s5, s21, s6
	s_load_b32 s0, s[0:1], 0x64
	s_add_i32 s5, s4, s5
	s_mul_i32 s4, s20, s6
	s_delay_alu instid0(SALU_CYCLE_1) | instskip(NEXT) | instid1(SALU_CYCLE_1)
	s_lshl_b64 s[4:5], s[4:5], 1
	s_add_u32 s4, s8, s4
	s_addc_u32 s5, s9, s5
	s_abs_i32 s6, s18
	s_ashr_i32 s7, s18, 31
	v_cvt_f32_u32_e32 v2, s6
	s_sub_i32 s1, 0, s6
	s_mov_b32 s8, 0
	s_sub_i32 s13, 0, s18
	s_delay_alu instid0(VALU_DEP_1) | instskip(SKIP_2) | instid1(VALU_DEP_1)
	v_rcp_iflag_f32_e32 v2, v2
	s_waitcnt_depctr 0xfff
	v_mul_f32_e32 v2, 0x4f7ffffe, v2
	v_cvt_u32_f32_e32 v2, v2
	s_delay_alu instid0(VALU_DEP_1)
	v_mul_lo_u32 v3, s1, v2
	s_waitcnt lgkmcnt(0)
	s_and_b32 s1, s0, 0xffff
	s_lshl_b32 s0, s18, 1
	s_lshl_b32 s12, s1, 1
	s_sub_i32 s9, 0, s0
	s_delay_alu instid0(VALU_DEP_1) | instskip(NEXT) | instid1(VALU_DEP_1)
	v_mul_hi_u32 v3, v2, v3
	v_add_nc_u32_e32 v2, v2, v3
.LBB23_5:                               ; =>This Inner Loop Header: Depth=1
	v_sub_nc_u32_e32 v3, 0, v0
	v_ashrrev_i32_e32 v4, 31, v0
	s_delay_alu instid0(VALU_DEP_2) | instskip(NEXT) | instid1(VALU_DEP_2)
	v_max_i32_e32 v3, v0, v3
	v_xor_b32_e32 v4, s7, v4
	s_delay_alu instid0(VALU_DEP_2) | instskip(NEXT) | instid1(VALU_DEP_1)
	v_mul_hi_u32 v5, v3, v2
	v_mul_lo_u32 v6, v5, s6
	v_add_nc_u32_e32 v7, 1, v5
	s_delay_alu instid0(VALU_DEP_2) | instskip(NEXT) | instid1(VALU_DEP_1)
	v_sub_nc_u32_e32 v3, v3, v6
	v_subrev_nc_u32_e32 v6, s6, v3
	v_cmp_le_u32_e32 vcc_lo, s6, v3
	s_delay_alu instid0(VALU_DEP_4) | instskip(NEXT) | instid1(VALU_DEP_1)
	v_cndmask_b32_e32 v5, v5, v7, vcc_lo
	v_dual_cndmask_b32 v3, v3, v6 :: v_dual_add_nc_u32 v6, 1, v5
	s_delay_alu instid0(VALU_DEP_1) | instskip(NEXT) | instid1(VALU_DEP_2)
	v_cmp_le_u32_e32 vcc_lo, s6, v3
	v_cndmask_b32_e32 v3, v5, v6, vcc_lo
	s_delay_alu instid0(VALU_DEP_1) | instskip(NEXT) | instid1(VALU_DEP_1)
	v_xor_b32_e32 v3, v3, v4
	v_sub_nc_u32_e32 v4, v3, v4
	s_delay_alu instid0(VALU_DEP_1)
	v_mul_lo_u32 v3, v4, s10
	v_mad_u64_u32 v[5:6], null, s13, v4, v[0:1]
	v_mad_u64_u32 v[7:8], null, s9, v4, v[1:2]
	v_add_nc_u32_e32 v0, s1, v0
	v_add_nc_u32_e32 v1, s12, v1
	v_ashrrev_i32_e32 v4, 31, v3
	v_ashrrev_i32_e32 v6, 31, v5
	;; [unrolled: 1-line block ×3, first 2 shown]
	s_delay_alu instid0(VALU_DEP_3) | instskip(NEXT) | instid1(VALU_DEP_3)
	v_lshlrev_b64 v[3:4], 1, v[3:4]
	v_lshlrev_b64 v[5:6], 1, v[5:6]
	s_delay_alu instid0(VALU_DEP_3) | instskip(NEXT) | instid1(VALU_DEP_3)
	v_lshlrev_b64 v[7:8], 1, v[7:8]
	v_add_co_u32 v9, vcc_lo, s4, v3
	s_delay_alu instid0(VALU_DEP_4) | instskip(NEXT) | instid1(VALU_DEP_4)
	v_add_co_ci_u32_e32 v10, vcc_lo, s5, v4, vcc_lo
	v_add_co_u32 v3, vcc_lo, s3, v5
	v_add_co_ci_u32_e32 v4, vcc_lo, s11, v6, vcc_lo
	v_add_co_u32 v5, vcc_lo, s16, v5
	;; [unrolled: 2-line block ×3, first 2 shown]
	v_add_co_ci_u32_e32 v8, vcc_lo, v10, v8, vcc_lo
	global_load_u16 v3, v[3:4], off
	global_load_b32 v4, v[7:8], off
	global_load_u16 v5, v[5:6], off
	s_waitcnt vmcnt(2)
	v_lshrrev_b16 v6, 8, v3
	s_waitcnt vmcnt(1)
	v_lshrrev_b32_e32 v11, 16, v4
	s_waitcnt vmcnt(0)
	v_lshrrev_b16 v9, 8, v5
	v_and_b32_e32 v5, 0xff, v5
	v_and_b32_e32 v10, 0xff, v4
	v_lshrrev_b16 v12, 8, v4
	v_and_b32_e32 v11, 0xff, v11
	s_delay_alu instid0(VALU_DEP_4) | instskip(NEXT) | instid1(VALU_DEP_1)
	v_lshlrev_b32_e32 v5, 16, v5
	v_lshl_or_b32 v5, v9, 24, v5
	v_and_b32_e32 v3, 0xff, v3
	s_delay_alu instid0(VALU_DEP_4) | instskip(NEXT) | instid1(VALU_DEP_2)
	v_lshlrev_b32_e32 v9, 16, v11
	v_lshlrev_b32_e32 v3, 16, v3
	s_delay_alu instid0(VALU_DEP_2) | instskip(SKIP_1) | instid1(VALU_DEP_3)
	v_and_or_b32 v4, 0xff000000, v4, v9
	v_lshlrev_b32_e32 v10, 16, v10
	v_lshl_or_b32 v3, v6, 24, v3
	s_delay_alu instid0(VALU_DEP_2) | instskip(NEXT) | instid1(VALU_DEP_1)
	v_lshl_or_b32 v6, v12, 24, v10
	v_mul_f32_e32 v10, v3, v6
	v_mul_f32_e32 v6, v5, v6
	;; [unrolled: 1-line block ×4, first 2 shown]
	s_delay_alu instid0(VALU_DEP_4) | instskip(NEXT) | instid1(VALU_DEP_4)
	v_bfe_u32 v9, v10, 16, 1
	v_bfe_u32 v4, v6, 16, 1
	s_delay_alu instid0(VALU_DEP_4) | instskip(NEXT) | instid1(VALU_DEP_4)
	v_bfe_u32 v11, v5, 16, 1
	v_bfe_u32 v12, v3, 16, 1
	v_cmp_o_f32_e32 vcc_lo, v6, v6
	v_add3_u32 v9, v10, v9, 0x7fff
	v_add3_u32 v4, v6, v4, 0x7fff
	;; [unrolled: 1-line block ×4, first 2 shown]
	v_cmp_o_f32_e64 s0, v10, v10
	v_lshrrev_b32_e32 v9, 16, v9
	v_lshrrev_b32_e32 v4, 16, v4
	s_delay_alu instid0(VALU_DEP_4) | instskip(NEXT) | instid1(VALU_DEP_3)
	v_lshrrev_b32_e32 v10, 16, v12
	v_cndmask_b32_e64 v6, 0x7fc0, v9, s0
	v_lshrrev_b32_e32 v9, 16, v11
	v_cmp_o_f32_e64 s0, v3, v3
	v_cndmask_b32_e32 v3, 0x7fc0, v4, vcc_lo
	v_cmp_o_f32_e32 vcc_lo, v5, v5
	v_and_b32_e32 v5, 0xff, v6
	v_lshrrev_b16 v6, 8, v6
	v_cndmask_b32_e32 v4, 0x7fc0, v9, vcc_lo
	v_cndmask_b32_e64 v9, 0x7fc0, v10, s0
	v_lshrrev_b16 v10, 8, v3
	v_and_b32_e32 v3, 0xff, v3
	v_lshlrev_b32_e32 v5, 16, v5
	v_and_b32_e32 v11, 0xff, v4
	v_and_b32_e32 v12, 0xff, v9
	v_lshrrev_b16 v4, 8, v4
	v_lshlrev_b32_e32 v3, 16, v3
	v_lshrrev_b16 v9, 8, v9
	v_lshlrev_b32_e32 v11, 16, v11
	v_lshl_or_b32 v5, v6, 24, v5
	s_delay_alu instid0(VALU_DEP_4) | instskip(SKIP_1) | instid1(VALU_DEP_4)
	v_lshl_or_b32 v3, v10, 24, v3
	v_lshlrev_b32_e32 v12, 16, v12
	v_lshl_or_b32 v4, v4, 24, v11
	s_delay_alu instid0(VALU_DEP_2) | instskip(NEXT) | instid1(VALU_DEP_1)
	v_lshl_or_b32 v6, v9, 24, v12
	v_dual_sub_f32 v4, v5, v4 :: v_dual_add_f32 v3, v3, v6
	s_delay_alu instid0(VALU_DEP_1) | instskip(SKIP_1) | instid1(VALU_DEP_3)
	v_bfe_u32 v5, v4, 16, 1
	v_cmp_o_f32_e64 s0, v4, v4
	v_bfe_u32 v6, v3, 16, 1
	s_delay_alu instid0(VALU_DEP_3) | instskip(SKIP_1) | instid1(VALU_DEP_3)
	v_add3_u32 v5, v4, v5, 0x7fff
	v_cmp_o_f32_e32 vcc_lo, v3, v3
	v_add3_u32 v6, v3, v6, 0x7fff
	s_delay_alu instid0(VALU_DEP_3) | instskip(NEXT) | instid1(VALU_DEP_2)
	v_lshrrev_b32_e32 v5, 16, v5
	v_lshrrev_b32_e32 v6, 16, v6
	s_delay_alu instid0(VALU_DEP_2) | instskip(NEXT) | instid1(VALU_DEP_2)
	v_cndmask_b32_e64 v3, 0x7fc0, v5, s0
	v_cndmask_b32_e32 v4, 0x7fc0, v6, vcc_lo
	v_cmp_le_i32_e32 vcc_lo, s2, v0
	s_delay_alu instid0(VALU_DEP_2)
	v_perm_b32 v3, v4, v3, 0x5040100
	s_or_b32 s8, vcc_lo, s8
	global_store_b32 v[7:8], v3, off
	s_and_not1_b32 exec_lo, exec_lo, s8
	s_cbranch_execnz .LBB23_5
.LBB23_6:
	s_nop 0
	s_sendmsg sendmsg(MSG_DEALLOC_VGPRS)
	s_endpgm
	.section	.rodata,"a",@progbits
	.p2align	6, 0x0
	.amdhsa_kernel _ZN4vllm31batched_rotary_embedding_kernelIN3c108BFloat16ELb0ELb1EEEvPKlPT_S6_PKS5_S8_S4_illiii
		.amdhsa_group_segment_fixed_size 0
		.amdhsa_private_segment_fixed_size 0
		.amdhsa_kernarg_size 344
		.amdhsa_user_sgpr_count 15
		.amdhsa_user_sgpr_dispatch_ptr 0
		.amdhsa_user_sgpr_queue_ptr 0
		.amdhsa_user_sgpr_kernarg_segment_ptr 1
		.amdhsa_user_sgpr_dispatch_id 0
		.amdhsa_user_sgpr_private_segment_size 0
		.amdhsa_wavefront_size32 1
		.amdhsa_uses_dynamic_stack 0
		.amdhsa_enable_private_segment 0
		.amdhsa_system_sgpr_workgroup_id_x 1
		.amdhsa_system_sgpr_workgroup_id_y 0
		.amdhsa_system_sgpr_workgroup_id_z 0
		.amdhsa_system_sgpr_workgroup_info 0
		.amdhsa_system_vgpr_workitem_id 0
		.amdhsa_next_free_vgpr 15
		.amdhsa_next_free_sgpr 29
		.amdhsa_reserve_vcc 1
		.amdhsa_float_round_mode_32 0
		.amdhsa_float_round_mode_16_64 0
		.amdhsa_float_denorm_mode_32 3
		.amdhsa_float_denorm_mode_16_64 3
		.amdhsa_dx10_clamp 1
		.amdhsa_ieee_mode 1
		.amdhsa_fp16_overflow 0
		.amdhsa_workgroup_processor_mode 1
		.amdhsa_memory_ordered 1
		.amdhsa_forward_progress 0
		.amdhsa_shared_vgpr_count 0
		.amdhsa_exception_fp_ieee_invalid_op 0
		.amdhsa_exception_fp_denorm_src 0
		.amdhsa_exception_fp_ieee_div_zero 0
		.amdhsa_exception_fp_ieee_overflow 0
		.amdhsa_exception_fp_ieee_underflow 0
		.amdhsa_exception_fp_ieee_inexact 0
		.amdhsa_exception_int_div_zero 0
	.end_amdhsa_kernel
	.section	.text._ZN4vllm31batched_rotary_embedding_kernelIN3c108BFloat16ELb0ELb1EEEvPKlPT_S6_PKS5_S8_S4_illiii,"axG",@progbits,_ZN4vllm31batched_rotary_embedding_kernelIN3c108BFloat16ELb0ELb1EEEvPKlPT_S6_PKS5_S8_S4_illiii,comdat
.Lfunc_end23:
	.size	_ZN4vllm31batched_rotary_embedding_kernelIN3c108BFloat16ELb0ELb1EEEvPKlPT_S6_PKS5_S8_S4_illiii, .Lfunc_end23-_ZN4vllm31batched_rotary_embedding_kernelIN3c108BFloat16ELb0ELb1EEEvPKlPT_S6_PKS5_S8_S4_illiii
                                        ; -- End function
	.section	.AMDGPU.csdata,"",@progbits
; Kernel info:
; codeLenInByte = 2284
; NumSgprs: 31
; NumVgprs: 15
; ScratchSize: 0
; MemoryBound: 0
; FloatMode: 240
; IeeeMode: 1
; LDSByteSize: 0 bytes/workgroup (compile time only)
; SGPRBlocks: 3
; VGPRBlocks: 1
; NumSGPRsForWavesPerEU: 31
; NumVGPRsForWavesPerEU: 15
; Occupancy: 16
; WaveLimiterHint : 1
; COMPUTE_PGM_RSRC2:SCRATCH_EN: 0
; COMPUTE_PGM_RSRC2:USER_SGPR: 15
; COMPUTE_PGM_RSRC2:TRAP_HANDLER: 0
; COMPUTE_PGM_RSRC2:TGID_X_EN: 1
; COMPUTE_PGM_RSRC2:TGID_Y_EN: 0
; COMPUTE_PGM_RSRC2:TGID_Z_EN: 0
; COMPUTE_PGM_RSRC2:TIDIG_COMP_CNT: 0
	.section	.text._ZN4vllm31batched_rotary_embedding_kernelIN3c108BFloat16ELb0ELb0EEEvPKlPT_S6_PKS5_S8_S4_illiii,"axG",@progbits,_ZN4vllm31batched_rotary_embedding_kernelIN3c108BFloat16ELb0ELb0EEEvPKlPT_S6_PKS5_S8_S4_illiii,comdat
	.protected	_ZN4vllm31batched_rotary_embedding_kernelIN3c108BFloat16ELb0ELb0EEEvPKlPT_S6_PKS5_S8_S4_illiii ; -- Begin function _ZN4vllm31batched_rotary_embedding_kernelIN3c108BFloat16ELb0ELb0EEEvPKlPT_S6_PKS5_S8_S4_illiii
	.globl	_ZN4vllm31batched_rotary_embedding_kernelIN3c108BFloat16ELb0ELb0EEEvPKlPT_S6_PKS5_S8_S4_illiii
	.p2align	8
	.type	_ZN4vllm31batched_rotary_embedding_kernelIN3c108BFloat16ELb0ELb0EEEvPKlPT_S6_PKS5_S8_S4_illiii,@function
_ZN4vllm31batched_rotary_embedding_kernelIN3c108BFloat16ELb0ELb0EEEvPKlPT_S6_PKS5_S8_S4_illiii: ; @_ZN4vllm31batched_rotary_embedding_kernelIN3c108BFloat16ELb0ELb0EEEvPKlPT_S6_PKS5_S8_S4_illiii
; %bb.0:
	s_mov_b32 s20, s15
	s_clause 0x2
	s_load_b32 s22, s[0:1], 0x30
	s_load_b64 s[2:3], s[0:1], 0x0
	s_load_b256 s[12:19], s[0:1], 0x10
	s_ashr_i32 s21, s20, 31
	v_lshlrev_b32_e32 v1, 1, v0
	s_lshl_b64 s[4:5], s[20:21], 3
	s_waitcnt lgkmcnt(0)
	s_ashr_i32 s23, s22, 31
	s_add_u32 s2, s2, s4
	s_addc_u32 s3, s3, s5
	s_add_u32 s4, s18, s4
	s_addc_u32 s5, s19, s5
	s_load_b64 s[2:3], s[2:3], 0x0
	s_load_b64 s[18:19], s[4:5], 0x0
	s_load_b256 s[4:11], s[0:1], 0x38
	s_waitcnt lgkmcnt(0)
	s_add_u32 s2, s18, s2
	s_addc_u32 s3, s19, s3
	s_mul_i32 s11, s2, s23
	s_mul_hi_u32 s18, s2, s22
	s_mul_i32 s3, s3, s22
	s_add_i32 s11, s18, s11
	s_mul_i32 s2, s2, s22
	s_add_i32 s11, s11, s3
	s_delay_alu instid0(SALU_CYCLE_1) | instskip(NEXT) | instid1(SALU_CYCLE_1)
	s_lshr_b32 s3, s11, 31
	s_add_u32 s2, s2, s3
	s_addc_u32 s18, s11, 0
	s_and_b32 s2, s2, -2
	s_delay_alu instid0(SALU_CYCLE_1)
	s_add_u32 s3, s14, s2
	s_addc_u32 s11, s15, s18
	s_add_u32 s14, s16, s2
	s_addc_u32 s15, s17, s18
	s_lshr_b32 s2, s22, 31
	s_mov_b32 s18, 0
	s_add_i32 s22, s22, s2
	s_mov_b32 s17, exec_lo
	s_ashr_i32 s16, s22, 1
	s_delay_alu instid0(SALU_CYCLE_1) | instskip(NEXT) | instid1(SALU_CYCLE_1)
	s_mul_i32 s8, s16, s8
	v_cmpx_gt_i32_e64 s8, v0
	s_cbranch_execz .LBB24_3
; %bb.1:
	s_load_b64 s[22:23], s[0:1], 0x8
	s_mul_i32 s2, s20, s5
	s_mul_hi_u32 s5, s20, s4
	s_mul_i32 s19, s21, s4
	s_add_i32 s2, s5, s2
	s_mul_i32 s4, s20, s4
	s_add_i32 s5, s2, s19
	s_load_b32 s2, s[0:1], 0x64
	s_lshl_b64 s[4:5], s[4:5], 1
	s_waitcnt lgkmcnt(0)
	s_add_u32 s4, s22, s4
	s_addc_u32 s5, s23, s5
	s_abs_i32 s19, s16
	s_ashr_i32 s23, s16, 31
	v_cvt_f32_u32_e32 v2, s19
	s_sub_i32 s22, 0, s19
	s_sub_i32 s26, 0, s16
	s_delay_alu instid0(VALU_DEP_1) | instskip(SKIP_2) | instid1(VALU_DEP_1)
	v_rcp_iflag_f32_e32 v2, v2
	s_waitcnt_depctr 0xfff
	v_mul_f32_e32 v2, 0x4f7ffffe, v2
	v_cvt_u32_f32_e32 v3, v2
	s_delay_alu instid0(VALU_DEP_1) | instskip(SKIP_4) | instid1(VALU_DEP_1)
	v_mul_lo_u32 v2, s22, v3
	s_and_b32 s22, s2, 0xffff
	s_lshl_b32 s2, s16, 1
	s_lshl_b32 s25, s22, 1
	s_sub_i32 s24, 0, s2
	v_mul_hi_u32 v4, v3, v2
	v_lshlrev_b32_e32 v2, 1, v0
	s_delay_alu instid0(VALU_DEP_2)
	v_dual_mov_b32 v3, v0 :: v_dual_add_nc_u32 v4, v3, v4
.LBB24_2:                               ; =>This Inner Loop Header: Depth=1
	s_delay_alu instid0(VALU_DEP_1) | instskip(SKIP_1) | instid1(VALU_DEP_2)
	v_sub_nc_u32_e32 v5, 0, v3
	v_ashrrev_i32_e32 v6, 31, v3
	v_max_i32_e32 v5, v3, v5
	s_delay_alu instid0(VALU_DEP_2) | instskip(NEXT) | instid1(VALU_DEP_2)
	v_xor_b32_e32 v6, s23, v6
	v_mul_hi_u32 v7, v5, v4
	s_delay_alu instid0(VALU_DEP_1) | instskip(SKIP_1) | instid1(VALU_DEP_2)
	v_mul_lo_u32 v8, v7, s19
	v_add_nc_u32_e32 v9, 1, v7
	v_sub_nc_u32_e32 v5, v5, v8
	s_delay_alu instid0(VALU_DEP_1) | instskip(SKIP_1) | instid1(VALU_DEP_4)
	v_subrev_nc_u32_e32 v8, s19, v5
	v_cmp_le_u32_e32 vcc_lo, s19, v5
	v_cndmask_b32_e32 v7, v7, v9, vcc_lo
	s_delay_alu instid0(VALU_DEP_1) | instskip(NEXT) | instid1(VALU_DEP_1)
	v_dual_cndmask_b32 v5, v5, v8 :: v_dual_add_nc_u32 v8, 1, v7
	v_cmp_le_u32_e32 vcc_lo, s19, v5
	s_delay_alu instid0(VALU_DEP_2) | instskip(NEXT) | instid1(VALU_DEP_1)
	v_cndmask_b32_e32 v5, v7, v8, vcc_lo
	v_xor_b32_e32 v5, v5, v6
	s_delay_alu instid0(VALU_DEP_1) | instskip(NEXT) | instid1(VALU_DEP_1)
	v_sub_nc_u32_e32 v6, v5, v6
	v_mul_lo_u32 v5, v6, s10
	v_mad_u64_u32 v[7:8], null, s26, v6, v[3:4]
	v_mad_u64_u32 v[9:10], null, s24, v6, v[2:3]
	v_add_nc_u32_e32 v3, s22, v3
	v_add_nc_u32_e32 v2, s25, v2
	v_ashrrev_i32_e32 v6, 31, v5
	v_ashrrev_i32_e32 v8, 31, v7
	;; [unrolled: 1-line block ×3, first 2 shown]
	s_delay_alu instid0(VALU_DEP_3) | instskip(NEXT) | instid1(VALU_DEP_3)
	v_lshlrev_b64 v[5:6], 1, v[5:6]
	v_lshlrev_b64 v[7:8], 1, v[7:8]
	s_delay_alu instid0(VALU_DEP_3) | instskip(NEXT) | instid1(VALU_DEP_3)
	v_lshlrev_b64 v[9:10], 1, v[9:10]
	v_add_co_u32 v11, vcc_lo, s4, v5
	s_delay_alu instid0(VALU_DEP_4) | instskip(NEXT) | instid1(VALU_DEP_4)
	v_add_co_ci_u32_e32 v12, vcc_lo, s5, v6, vcc_lo
	v_add_co_u32 v5, vcc_lo, s3, v7
	v_add_co_ci_u32_e32 v6, vcc_lo, s11, v8, vcc_lo
	v_add_co_u32 v7, vcc_lo, s14, v7
	;; [unrolled: 2-line block ×3, first 2 shown]
	v_add_co_ci_u32_e32 v10, vcc_lo, v12, v10, vcc_lo
	global_load_u16 v5, v[5:6], off
	global_load_b32 v6, v[9:10], off
	global_load_u16 v7, v[7:8], off
	s_waitcnt vmcnt(2)
	v_lshrrev_b16 v8, 8, v5
	s_waitcnt vmcnt(1)
	v_lshrrev_b32_e32 v13, 16, v6
	s_waitcnt vmcnt(0)
	v_lshrrev_b16 v11, 8, v7
	v_and_b32_e32 v7, 0xff, v7
	v_and_b32_e32 v12, 0xff, v6
	v_lshrrev_b16 v14, 8, v6
	v_and_b32_e32 v13, 0xff, v13
	s_delay_alu instid0(VALU_DEP_4) | instskip(NEXT) | instid1(VALU_DEP_1)
	v_lshlrev_b32_e32 v7, 16, v7
	v_lshl_or_b32 v7, v11, 24, v7
	v_and_b32_e32 v5, 0xff, v5
	s_delay_alu instid0(VALU_DEP_4) | instskip(NEXT) | instid1(VALU_DEP_2)
	v_lshlrev_b32_e32 v11, 16, v13
	v_lshlrev_b32_e32 v5, 16, v5
	s_delay_alu instid0(VALU_DEP_2) | instskip(SKIP_1) | instid1(VALU_DEP_3)
	v_and_or_b32 v6, 0xff000000, v6, v11
	v_lshlrev_b32_e32 v12, 16, v12
	v_lshl_or_b32 v5, v8, 24, v5
	s_delay_alu instid0(VALU_DEP_2) | instskip(NEXT) | instid1(VALU_DEP_1)
	v_lshl_or_b32 v8, v14, 24, v12
	v_mul_f32_e32 v12, v5, v8
	v_mul_f32_e32 v8, v7, v8
	;; [unrolled: 1-line block ×4, first 2 shown]
	s_delay_alu instid0(VALU_DEP_4) | instskip(NEXT) | instid1(VALU_DEP_4)
	v_bfe_u32 v11, v12, 16, 1
	v_bfe_u32 v6, v8, 16, 1
	s_delay_alu instid0(VALU_DEP_4) | instskip(NEXT) | instid1(VALU_DEP_4)
	v_bfe_u32 v13, v7, 16, 1
	v_bfe_u32 v14, v5, 16, 1
	v_cmp_o_f32_e32 vcc_lo, v8, v8
	v_add3_u32 v11, v12, v11, 0x7fff
	v_add3_u32 v6, v8, v6, 0x7fff
	;; [unrolled: 1-line block ×4, first 2 shown]
	v_cmp_o_f32_e64 s2, v12, v12
	v_lshrrev_b32_e32 v11, 16, v11
	v_lshrrev_b32_e32 v6, 16, v6
	s_delay_alu instid0(VALU_DEP_4) | instskip(NEXT) | instid1(VALU_DEP_3)
	v_lshrrev_b32_e32 v12, 16, v14
	v_cndmask_b32_e64 v8, 0x7fc0, v11, s2
	v_lshrrev_b32_e32 v11, 16, v13
	v_cmp_o_f32_e64 s2, v5, v5
	v_cndmask_b32_e32 v5, 0x7fc0, v6, vcc_lo
	v_cmp_o_f32_e32 vcc_lo, v7, v7
	v_and_b32_e32 v7, 0xff, v8
	v_lshrrev_b16 v8, 8, v8
	v_cndmask_b32_e32 v6, 0x7fc0, v11, vcc_lo
	v_cndmask_b32_e64 v11, 0x7fc0, v12, s2
	v_lshrrev_b16 v12, 8, v5
	v_and_b32_e32 v5, 0xff, v5
	v_lshlrev_b32_e32 v7, 16, v7
	v_and_b32_e32 v13, 0xff, v6
	v_and_b32_e32 v14, 0xff, v11
	v_lshrrev_b16 v6, 8, v6
	v_lshlrev_b32_e32 v5, 16, v5
	v_lshrrev_b16 v11, 8, v11
	v_lshlrev_b32_e32 v13, 16, v13
	v_lshl_or_b32 v7, v8, 24, v7
	s_delay_alu instid0(VALU_DEP_4) | instskip(SKIP_1) | instid1(VALU_DEP_4)
	v_lshl_or_b32 v5, v12, 24, v5
	v_lshlrev_b32_e32 v14, 16, v14
	v_lshl_or_b32 v6, v6, 24, v13
	s_delay_alu instid0(VALU_DEP_2) | instskip(NEXT) | instid1(VALU_DEP_1)
	v_lshl_or_b32 v8, v11, 24, v14
	v_dual_sub_f32 v6, v7, v6 :: v_dual_add_f32 v5, v5, v8
	s_delay_alu instid0(VALU_DEP_1) | instskip(SKIP_1) | instid1(VALU_DEP_3)
	v_bfe_u32 v7, v6, 16, 1
	v_cmp_o_f32_e64 s2, v6, v6
	v_bfe_u32 v8, v5, 16, 1
	s_delay_alu instid0(VALU_DEP_3) | instskip(SKIP_1) | instid1(VALU_DEP_3)
	v_add3_u32 v7, v6, v7, 0x7fff
	v_cmp_o_f32_e32 vcc_lo, v5, v5
	v_add3_u32 v8, v5, v8, 0x7fff
	s_delay_alu instid0(VALU_DEP_3) | instskip(NEXT) | instid1(VALU_DEP_2)
	v_lshrrev_b32_e32 v7, 16, v7
	v_lshrrev_b32_e32 v8, 16, v8
	s_delay_alu instid0(VALU_DEP_2) | instskip(NEXT) | instid1(VALU_DEP_2)
	v_cndmask_b32_e64 v5, 0x7fc0, v7, s2
	v_cndmask_b32_e32 v6, 0x7fc0, v8, vcc_lo
	v_cmp_le_i32_e32 vcc_lo, s8, v3
	s_delay_alu instid0(VALU_DEP_2)
	v_perm_b32 v5, v6, v5, 0x5040100
	s_or_b32 s18, vcc_lo, s18
	global_store_b32 v[9:10], v5, off
	s_and_not1_b32 exec_lo, exec_lo, s18
	s_cbranch_execnz .LBB24_2
.LBB24_3:
	s_or_b32 exec_lo, exec_lo, s17
	s_mul_i32 s2, s16, s9
	s_mov_b32 s4, exec_lo
	v_cmpx_gt_i32_e64 s2, v0
	s_cbranch_execz .LBB24_6
; %bb.4:
	s_mul_i32 s4, s20, s7
	s_mul_hi_u32 s5, s20, s6
	s_mul_i32 s7, s21, s6
	s_add_i32 s5, s5, s4
	s_mul_i32 s4, s20, s6
	s_add_i32 s5, s5, s7
	s_load_b32 s0, s[0:1], 0x64
	s_lshl_b64 s[4:5], s[4:5], 1
	s_mov_b32 s8, 0
	s_add_u32 s4, s12, s4
	s_addc_u32 s5, s13, s5
	s_abs_i32 s6, s16
	s_ashr_i32 s7, s16, 31
	v_cvt_f32_u32_e32 v2, s6
	s_sub_i32 s1, 0, s6
	s_sub_i32 s13, 0, s16
	s_delay_alu instid0(VALU_DEP_1) | instskip(SKIP_2) | instid1(VALU_DEP_1)
	v_rcp_iflag_f32_e32 v2, v2
	s_waitcnt_depctr 0xfff
	v_mul_f32_e32 v2, 0x4f7ffffe, v2
	v_cvt_u32_f32_e32 v2, v2
	s_delay_alu instid0(VALU_DEP_1)
	v_mul_lo_u32 v3, s1, v2
	s_waitcnt lgkmcnt(0)
	s_and_b32 s1, s0, 0xffff
	s_lshl_b32 s0, s16, 1
	s_lshl_b32 s12, s1, 1
	s_sub_i32 s9, 0, s0
	s_delay_alu instid0(VALU_DEP_1) | instskip(NEXT) | instid1(VALU_DEP_1)
	v_mul_hi_u32 v3, v2, v3
	v_add_nc_u32_e32 v2, v2, v3
.LBB24_5:                               ; =>This Inner Loop Header: Depth=1
	v_sub_nc_u32_e32 v3, 0, v0
	v_ashrrev_i32_e32 v4, 31, v0
	s_delay_alu instid0(VALU_DEP_2) | instskip(NEXT) | instid1(VALU_DEP_2)
	v_max_i32_e32 v3, v0, v3
	v_xor_b32_e32 v4, s7, v4
	s_delay_alu instid0(VALU_DEP_2) | instskip(NEXT) | instid1(VALU_DEP_1)
	v_mul_hi_u32 v5, v3, v2
	v_mul_lo_u32 v6, v5, s6
	v_add_nc_u32_e32 v7, 1, v5
	s_delay_alu instid0(VALU_DEP_2) | instskip(NEXT) | instid1(VALU_DEP_1)
	v_sub_nc_u32_e32 v3, v3, v6
	v_subrev_nc_u32_e32 v6, s6, v3
	v_cmp_le_u32_e32 vcc_lo, s6, v3
	s_delay_alu instid0(VALU_DEP_4) | instskip(NEXT) | instid1(VALU_DEP_1)
	v_cndmask_b32_e32 v5, v5, v7, vcc_lo
	v_dual_cndmask_b32 v3, v3, v6 :: v_dual_add_nc_u32 v6, 1, v5
	s_delay_alu instid0(VALU_DEP_1) | instskip(NEXT) | instid1(VALU_DEP_2)
	v_cmp_le_u32_e32 vcc_lo, s6, v3
	v_cndmask_b32_e32 v3, v5, v6, vcc_lo
	s_delay_alu instid0(VALU_DEP_1) | instskip(NEXT) | instid1(VALU_DEP_1)
	v_xor_b32_e32 v3, v3, v4
	v_sub_nc_u32_e32 v4, v3, v4
	s_delay_alu instid0(VALU_DEP_1)
	v_mul_lo_u32 v3, v4, s10
	v_mad_u64_u32 v[5:6], null, s13, v4, v[0:1]
	v_mad_u64_u32 v[7:8], null, s9, v4, v[1:2]
	v_add_nc_u32_e32 v0, s1, v0
	v_add_nc_u32_e32 v1, s12, v1
	v_ashrrev_i32_e32 v4, 31, v3
	v_ashrrev_i32_e32 v6, 31, v5
	;; [unrolled: 1-line block ×3, first 2 shown]
	s_delay_alu instid0(VALU_DEP_3) | instskip(NEXT) | instid1(VALU_DEP_3)
	v_lshlrev_b64 v[3:4], 1, v[3:4]
	v_lshlrev_b64 v[5:6], 1, v[5:6]
	s_delay_alu instid0(VALU_DEP_3) | instskip(NEXT) | instid1(VALU_DEP_3)
	v_lshlrev_b64 v[7:8], 1, v[7:8]
	v_add_co_u32 v9, vcc_lo, s4, v3
	s_delay_alu instid0(VALU_DEP_4) | instskip(NEXT) | instid1(VALU_DEP_4)
	v_add_co_ci_u32_e32 v10, vcc_lo, s5, v4, vcc_lo
	v_add_co_u32 v3, vcc_lo, s3, v5
	v_add_co_ci_u32_e32 v4, vcc_lo, s11, v6, vcc_lo
	v_add_co_u32 v5, vcc_lo, s14, v5
	v_add_co_ci_u32_e32 v6, vcc_lo, s15, v6, vcc_lo
	v_add_co_u32 v7, vcc_lo, v9, v7
	v_add_co_ci_u32_e32 v8, vcc_lo, v10, v8, vcc_lo
	global_load_u16 v3, v[3:4], off
	global_load_b32 v4, v[7:8], off
	global_load_u16 v5, v[5:6], off
	s_waitcnt vmcnt(2)
	v_lshrrev_b16 v6, 8, v3
	s_waitcnt vmcnt(1)
	v_lshrrev_b32_e32 v11, 16, v4
	s_waitcnt vmcnt(0)
	v_lshrrev_b16 v9, 8, v5
	v_and_b32_e32 v5, 0xff, v5
	v_and_b32_e32 v10, 0xff, v4
	v_lshrrev_b16 v12, 8, v4
	v_and_b32_e32 v11, 0xff, v11
	s_delay_alu instid0(VALU_DEP_4) | instskip(NEXT) | instid1(VALU_DEP_1)
	v_lshlrev_b32_e32 v5, 16, v5
	v_lshl_or_b32 v5, v9, 24, v5
	v_and_b32_e32 v3, 0xff, v3
	s_delay_alu instid0(VALU_DEP_4) | instskip(NEXT) | instid1(VALU_DEP_2)
	v_lshlrev_b32_e32 v9, 16, v11
	v_lshlrev_b32_e32 v3, 16, v3
	s_delay_alu instid0(VALU_DEP_2) | instskip(SKIP_1) | instid1(VALU_DEP_3)
	v_and_or_b32 v4, 0xff000000, v4, v9
	v_lshlrev_b32_e32 v10, 16, v10
	v_lshl_or_b32 v3, v6, 24, v3
	s_delay_alu instid0(VALU_DEP_2) | instskip(NEXT) | instid1(VALU_DEP_1)
	v_lshl_or_b32 v6, v12, 24, v10
	v_mul_f32_e32 v10, v3, v6
	v_mul_f32_e32 v6, v5, v6
	v_mul_f32_e32 v5, v5, v4
	v_mul_f32_e32 v3, v3, v4
	s_delay_alu instid0(VALU_DEP_4) | instskip(NEXT) | instid1(VALU_DEP_4)
	v_bfe_u32 v9, v10, 16, 1
	v_bfe_u32 v4, v6, 16, 1
	s_delay_alu instid0(VALU_DEP_4) | instskip(NEXT) | instid1(VALU_DEP_4)
	v_bfe_u32 v11, v5, 16, 1
	v_bfe_u32 v12, v3, 16, 1
	v_cmp_o_f32_e32 vcc_lo, v6, v6
	v_add3_u32 v9, v10, v9, 0x7fff
	v_add3_u32 v4, v6, v4, 0x7fff
	;; [unrolled: 1-line block ×4, first 2 shown]
	v_cmp_o_f32_e64 s0, v10, v10
	v_lshrrev_b32_e32 v9, 16, v9
	v_lshrrev_b32_e32 v4, 16, v4
	s_delay_alu instid0(VALU_DEP_4) | instskip(NEXT) | instid1(VALU_DEP_3)
	v_lshrrev_b32_e32 v10, 16, v12
	v_cndmask_b32_e64 v6, 0x7fc0, v9, s0
	v_lshrrev_b32_e32 v9, 16, v11
	v_cmp_o_f32_e64 s0, v3, v3
	v_cndmask_b32_e32 v3, 0x7fc0, v4, vcc_lo
	v_cmp_o_f32_e32 vcc_lo, v5, v5
	v_and_b32_e32 v5, 0xff, v6
	v_lshrrev_b16 v6, 8, v6
	v_cndmask_b32_e32 v4, 0x7fc0, v9, vcc_lo
	v_cndmask_b32_e64 v9, 0x7fc0, v10, s0
	v_lshrrev_b16 v10, 8, v3
	v_and_b32_e32 v3, 0xff, v3
	v_lshlrev_b32_e32 v5, 16, v5
	v_and_b32_e32 v11, 0xff, v4
	v_and_b32_e32 v12, 0xff, v9
	v_lshrrev_b16 v4, 8, v4
	v_lshlrev_b32_e32 v3, 16, v3
	v_lshrrev_b16 v9, 8, v9
	v_lshlrev_b32_e32 v11, 16, v11
	v_lshl_or_b32 v5, v6, 24, v5
	s_delay_alu instid0(VALU_DEP_4) | instskip(SKIP_1) | instid1(VALU_DEP_4)
	v_lshl_or_b32 v3, v10, 24, v3
	v_lshlrev_b32_e32 v12, 16, v12
	v_lshl_or_b32 v4, v4, 24, v11
	s_delay_alu instid0(VALU_DEP_2) | instskip(NEXT) | instid1(VALU_DEP_1)
	v_lshl_or_b32 v6, v9, 24, v12
	v_dual_sub_f32 v4, v5, v4 :: v_dual_add_f32 v3, v3, v6
	s_delay_alu instid0(VALU_DEP_1) | instskip(SKIP_1) | instid1(VALU_DEP_3)
	v_bfe_u32 v5, v4, 16, 1
	v_cmp_o_f32_e64 s0, v4, v4
	v_bfe_u32 v6, v3, 16, 1
	s_delay_alu instid0(VALU_DEP_3) | instskip(SKIP_1) | instid1(VALU_DEP_3)
	v_add3_u32 v5, v4, v5, 0x7fff
	v_cmp_o_f32_e32 vcc_lo, v3, v3
	v_add3_u32 v6, v3, v6, 0x7fff
	s_delay_alu instid0(VALU_DEP_3) | instskip(NEXT) | instid1(VALU_DEP_2)
	v_lshrrev_b32_e32 v5, 16, v5
	v_lshrrev_b32_e32 v6, 16, v6
	s_delay_alu instid0(VALU_DEP_2) | instskip(NEXT) | instid1(VALU_DEP_2)
	v_cndmask_b32_e64 v3, 0x7fc0, v5, s0
	v_cndmask_b32_e32 v4, 0x7fc0, v6, vcc_lo
	v_cmp_le_i32_e32 vcc_lo, s2, v0
	s_delay_alu instid0(VALU_DEP_2)
	v_perm_b32 v3, v4, v3, 0x5040100
	s_or_b32 s8, vcc_lo, s8
	global_store_b32 v[7:8], v3, off
	s_and_not1_b32 exec_lo, exec_lo, s8
	s_cbranch_execnz .LBB24_5
.LBB24_6:
	s_nop 0
	s_sendmsg sendmsg(MSG_DEALLOC_VGPRS)
	s_endpgm
	.section	.rodata,"a",@progbits
	.p2align	6, 0x0
	.amdhsa_kernel _ZN4vllm31batched_rotary_embedding_kernelIN3c108BFloat16ELb0ELb0EEEvPKlPT_S6_PKS5_S8_S4_illiii
		.amdhsa_group_segment_fixed_size 0
		.amdhsa_private_segment_fixed_size 0
		.amdhsa_kernarg_size 344
		.amdhsa_user_sgpr_count 15
		.amdhsa_user_sgpr_dispatch_ptr 0
		.amdhsa_user_sgpr_queue_ptr 0
		.amdhsa_user_sgpr_kernarg_segment_ptr 1
		.amdhsa_user_sgpr_dispatch_id 0
		.amdhsa_user_sgpr_private_segment_size 0
		.amdhsa_wavefront_size32 1
		.amdhsa_uses_dynamic_stack 0
		.amdhsa_enable_private_segment 0
		.amdhsa_system_sgpr_workgroup_id_x 1
		.amdhsa_system_sgpr_workgroup_id_y 0
		.amdhsa_system_sgpr_workgroup_id_z 0
		.amdhsa_system_sgpr_workgroup_info 0
		.amdhsa_system_vgpr_workitem_id 0
		.amdhsa_next_free_vgpr 15
		.amdhsa_next_free_sgpr 27
		.amdhsa_reserve_vcc 1
		.amdhsa_float_round_mode_32 0
		.amdhsa_float_round_mode_16_64 0
		.amdhsa_float_denorm_mode_32 3
		.amdhsa_float_denorm_mode_16_64 3
		.amdhsa_dx10_clamp 1
		.amdhsa_ieee_mode 1
		.amdhsa_fp16_overflow 0
		.amdhsa_workgroup_processor_mode 1
		.amdhsa_memory_ordered 1
		.amdhsa_forward_progress 0
		.amdhsa_shared_vgpr_count 0
		.amdhsa_exception_fp_ieee_invalid_op 0
		.amdhsa_exception_fp_denorm_src 0
		.amdhsa_exception_fp_ieee_div_zero 0
		.amdhsa_exception_fp_ieee_overflow 0
		.amdhsa_exception_fp_ieee_underflow 0
		.amdhsa_exception_fp_ieee_inexact 0
		.amdhsa_exception_int_div_zero 0
	.end_amdhsa_kernel
	.section	.text._ZN4vllm31batched_rotary_embedding_kernelIN3c108BFloat16ELb0ELb0EEEvPKlPT_S6_PKS5_S8_S4_illiii,"axG",@progbits,_ZN4vllm31batched_rotary_embedding_kernelIN3c108BFloat16ELb0ELb0EEEvPKlPT_S6_PKS5_S8_S4_illiii,comdat
.Lfunc_end24:
	.size	_ZN4vllm31batched_rotary_embedding_kernelIN3c108BFloat16ELb0ELb0EEEvPKlPT_S6_PKS5_S8_S4_illiii, .Lfunc_end24-_ZN4vllm31batched_rotary_embedding_kernelIN3c108BFloat16ELb0ELb0EEEvPKlPT_S6_PKS5_S8_S4_illiii
                                        ; -- End function
	.section	.AMDGPU.csdata,"",@progbits
; Kernel info:
; codeLenInByte = 2240
; NumSgprs: 29
; NumVgprs: 15
; ScratchSize: 0
; MemoryBound: 0
; FloatMode: 240
; IeeeMode: 1
; LDSByteSize: 0 bytes/workgroup (compile time only)
; SGPRBlocks: 3
; VGPRBlocks: 1
; NumSGPRsForWavesPerEU: 29
; NumVGPRsForWavesPerEU: 15
; Occupancy: 16
; WaveLimiterHint : 1
; COMPUTE_PGM_RSRC2:SCRATCH_EN: 0
; COMPUTE_PGM_RSRC2:USER_SGPR: 15
; COMPUTE_PGM_RSRC2:TRAP_HANDLER: 0
; COMPUTE_PGM_RSRC2:TGID_X_EN: 1
; COMPUTE_PGM_RSRC2:TGID_Y_EN: 0
; COMPUTE_PGM_RSRC2:TGID_Z_EN: 0
; COMPUTE_PGM_RSRC2:TIDIG_COMP_CNT: 0
	.text
	.p2alignl 7, 3214868480
	.fill 96, 4, 3214868480
	.type	__hip_cuid_ad3abf406146182e,@object ; @__hip_cuid_ad3abf406146182e
	.section	.bss,"aw",@nobits
	.globl	__hip_cuid_ad3abf406146182e
__hip_cuid_ad3abf406146182e:
	.byte	0                               ; 0x0
	.size	__hip_cuid_ad3abf406146182e, 1

	.ident	"AMD clang version 19.0.0git (https://github.com/RadeonOpenCompute/llvm-project roc-6.4.0 25133 c7fe45cf4b819c5991fe208aaa96edf142730f1d)"
	.section	".note.GNU-stack","",@progbits
	.addrsig
	.addrsig_sym __hip_cuid_ad3abf406146182e
	.amdgpu_metadata
---
amdhsa.kernels:
  - .args:           []
    .group_segment_fixed_size: 0
    .kernarg_segment_align: 4
    .kernarg_segment_size: 0
    .language:       OpenCL C
    .language_version:
      - 2
      - 0
    .max_flat_workgroup_size: 1024
    .name:           _ZN7ck_tileL11flush_cacheEv
    .private_segment_fixed_size: 0
    .sgpr_count:     0
    .sgpr_spill_count: 0
    .symbol:         _ZN7ck_tileL11flush_cacheEv.kd
    .uniform_work_group_size: 1
    .uses_dynamic_stack: false
    .vgpr_count:     0
    .vgpr_spill_count: 0
    .wavefront_size: 32
    .workgroup_processor_mode: 1
  - .args:
      - .actual_access:  read_only
        .address_space:  global
        .offset:         0
        .size:           8
        .value_kind:     global_buffer
      - .address_space:  global
        .offset:         8
        .size:           8
        .value_kind:     global_buffer
      - .address_space:  global
        .offset:         16
        .size:           8
        .value_kind:     global_buffer
      - .actual_access:  read_only
        .address_space:  global
        .offset:         24
        .size:           8
        .value_kind:     global_buffer
      - .actual_access:  read_only
        .address_space:  global
        .offset:         32
        .size:           8
        .value_kind:     global_buffer
      - .offset:         40
        .size:           4
        .value_kind:     by_value
      - .offset:         48
        .size:           8
        .value_kind:     by_value
      - .offset:         56
        .size:           8
        .value_kind:     by_value
      - .offset:         64
        .size:           4
        .value_kind:     by_value
      - .offset:         68
        .size:           4
        .value_kind:     by_value
      - .offset:         72
        .size:           4
        .value_kind:     by_value
      - .offset:         80
        .size:           4
        .value_kind:     hidden_block_count_x
      - .offset:         84
        .size:           4
        .value_kind:     hidden_block_count_y
      - .offset:         88
        .size:           4
        .value_kind:     hidden_block_count_z
      - .offset:         92
        .size:           2
        .value_kind:     hidden_group_size_x
      - .offset:         94
        .size:           2
        .value_kind:     hidden_group_size_y
      - .offset:         96
        .size:           2
        .value_kind:     hidden_group_size_z
      - .offset:         98
        .size:           2
        .value_kind:     hidden_remainder_x
      - .offset:         100
        .size:           2
        .value_kind:     hidden_remainder_y
      - .offset:         102
        .size:           2
        .value_kind:     hidden_remainder_z
      - .offset:         120
        .size:           8
        .value_kind:     hidden_global_offset_x
      - .offset:         128
        .size:           8
        .value_kind:     hidden_global_offset_y
      - .offset:         136
        .size:           8
        .value_kind:     hidden_global_offset_z
      - .offset:         144
        .size:           2
        .value_kind:     hidden_grid_dims
    .group_segment_fixed_size: 0
    .kernarg_segment_align: 8
    .kernarg_segment_size: 336
    .language:       OpenCL C
    .language_version:
      - 2
      - 0
    .max_flat_workgroup_size: 1024
    .name:           _ZN4vllm23rotary_embedding_kernelIfLb1ELb1EEEvPKlPT_S4_PKS3_S6_illiii
    .private_segment_fixed_size: 0
    .sgpr_count:     31
    .sgpr_spill_count: 0
    .symbol:         _ZN4vllm23rotary_embedding_kernelIfLb1ELb1EEEvPKlPT_S4_PKS3_S6_illiii.kd
    .uniform_work_group_size: 1
    .uses_dynamic_stack: false
    .vgpr_count:     12
    .vgpr_spill_count: 0
    .wavefront_size: 32
    .workgroup_processor_mode: 1
  - .args:
      - .actual_access:  read_only
        .address_space:  global
        .offset:         0
        .size:           8
        .value_kind:     global_buffer
      - .address_space:  global
        .offset:         8
        .size:           8
        .value_kind:     global_buffer
      - .address_space:  global
        .offset:         16
        .size:           8
        .value_kind:     global_buffer
      - .actual_access:  read_only
        .address_space:  global
        .offset:         24
        .size:           8
        .value_kind:     global_buffer
      - .actual_access:  read_only
        .address_space:  global
        .offset:         32
        .size:           8
        .value_kind:     global_buffer
      - .offset:         40
        .size:           4
        .value_kind:     by_value
      - .offset:         48
        .size:           8
        .value_kind:     by_value
      - .offset:         56
        .size:           8
        .value_kind:     by_value
      - .offset:         64
        .size:           4
        .value_kind:     by_value
      - .offset:         68
        .size:           4
        .value_kind:     by_value
      - .offset:         72
        .size:           4
        .value_kind:     by_value
      - .offset:         80
        .size:           4
        .value_kind:     hidden_block_count_x
      - .offset:         84
        .size:           4
        .value_kind:     hidden_block_count_y
      - .offset:         88
        .size:           4
        .value_kind:     hidden_block_count_z
      - .offset:         92
        .size:           2
        .value_kind:     hidden_group_size_x
      - .offset:         94
        .size:           2
        .value_kind:     hidden_group_size_y
      - .offset:         96
        .size:           2
        .value_kind:     hidden_group_size_z
      - .offset:         98
        .size:           2
        .value_kind:     hidden_remainder_x
      - .offset:         100
        .size:           2
        .value_kind:     hidden_remainder_y
      - .offset:         102
        .size:           2
        .value_kind:     hidden_remainder_z
      - .offset:         120
        .size:           8
        .value_kind:     hidden_global_offset_x
      - .offset:         128
        .size:           8
        .value_kind:     hidden_global_offset_y
      - .offset:         136
        .size:           8
        .value_kind:     hidden_global_offset_z
      - .offset:         144
        .size:           2
        .value_kind:     hidden_grid_dims
    .group_segment_fixed_size: 0
    .kernarg_segment_align: 8
    .kernarg_segment_size: 336
    .language:       OpenCL C
    .language_version:
      - 2
      - 0
    .max_flat_workgroup_size: 1024
    .name:           _ZN4vllm23rotary_embedding_kernelIfLb1ELb0EEEvPKlPT_S4_PKS3_S6_illiii
    .private_segment_fixed_size: 0
    .sgpr_count:     28
    .sgpr_spill_count: 0
    .symbol:         _ZN4vllm23rotary_embedding_kernelIfLb1ELb0EEEvPKlPT_S4_PKS3_S6_illiii.kd
    .uniform_work_group_size: 1
    .uses_dynamic_stack: false
    .vgpr_count:     12
    .vgpr_spill_count: 0
    .wavefront_size: 32
    .workgroup_processor_mode: 1
  - .args:
      - .actual_access:  read_only
        .address_space:  global
        .offset:         0
        .size:           8
        .value_kind:     global_buffer
      - .address_space:  global
        .offset:         8
        .size:           8
        .value_kind:     global_buffer
      - .address_space:  global
        .offset:         16
        .size:           8
        .value_kind:     global_buffer
      - .actual_access:  read_only
        .address_space:  global
        .offset:         24
        .size:           8
        .value_kind:     global_buffer
      - .actual_access:  read_only
        .address_space:  global
        .offset:         32
        .size:           8
        .value_kind:     global_buffer
      - .offset:         40
        .size:           4
        .value_kind:     by_value
      - .offset:         48
        .size:           8
        .value_kind:     by_value
      - .offset:         56
        .size:           8
        .value_kind:     by_value
      - .offset:         64
        .size:           4
        .value_kind:     by_value
      - .offset:         68
        .size:           4
        .value_kind:     by_value
      - .offset:         72
        .size:           4
        .value_kind:     by_value
      - .offset:         80
        .size:           4
        .value_kind:     hidden_block_count_x
      - .offset:         84
        .size:           4
        .value_kind:     hidden_block_count_y
      - .offset:         88
        .size:           4
        .value_kind:     hidden_block_count_z
      - .offset:         92
        .size:           2
        .value_kind:     hidden_group_size_x
      - .offset:         94
        .size:           2
        .value_kind:     hidden_group_size_y
      - .offset:         96
        .size:           2
        .value_kind:     hidden_group_size_z
      - .offset:         98
        .size:           2
        .value_kind:     hidden_remainder_x
      - .offset:         100
        .size:           2
        .value_kind:     hidden_remainder_y
      - .offset:         102
        .size:           2
        .value_kind:     hidden_remainder_z
      - .offset:         120
        .size:           8
        .value_kind:     hidden_global_offset_x
      - .offset:         128
        .size:           8
        .value_kind:     hidden_global_offset_y
      - .offset:         136
        .size:           8
        .value_kind:     hidden_global_offset_z
      - .offset:         144
        .size:           2
        .value_kind:     hidden_grid_dims
    .group_segment_fixed_size: 0
    .kernarg_segment_align: 8
    .kernarg_segment_size: 336
    .language:       OpenCL C
    .language_version:
      - 2
      - 0
    .max_flat_workgroup_size: 1024
    .name:           _ZN4vllm23rotary_embedding_kernelIfLb0ELb1EEEvPKlPT_S4_PKS3_S6_illiii
    .private_segment_fixed_size: 0
    .sgpr_count:     31
    .sgpr_spill_count: 0
    .symbol:         _ZN4vllm23rotary_embedding_kernelIfLb0ELb1EEEvPKlPT_S4_PKS3_S6_illiii.kd
    .uniform_work_group_size: 1
    .uses_dynamic_stack: false
    .vgpr_count:     13
    .vgpr_spill_count: 0
    .wavefront_size: 32
    .workgroup_processor_mode: 1
  - .args:
      - .actual_access:  read_only
        .address_space:  global
        .offset:         0
        .size:           8
        .value_kind:     global_buffer
      - .address_space:  global
        .offset:         8
        .size:           8
        .value_kind:     global_buffer
      - .address_space:  global
        .offset:         16
        .size:           8
        .value_kind:     global_buffer
      - .actual_access:  read_only
        .address_space:  global
        .offset:         24
        .size:           8
        .value_kind:     global_buffer
      - .actual_access:  read_only
        .address_space:  global
        .offset:         32
        .size:           8
        .value_kind:     global_buffer
      - .offset:         40
        .size:           4
        .value_kind:     by_value
      - .offset:         48
        .size:           8
        .value_kind:     by_value
      - .offset:         56
        .size:           8
        .value_kind:     by_value
      - .offset:         64
        .size:           4
        .value_kind:     by_value
      - .offset:         68
        .size:           4
        .value_kind:     by_value
      - .offset:         72
        .size:           4
        .value_kind:     by_value
      - .offset:         80
        .size:           4
        .value_kind:     hidden_block_count_x
      - .offset:         84
        .size:           4
        .value_kind:     hidden_block_count_y
      - .offset:         88
        .size:           4
        .value_kind:     hidden_block_count_z
      - .offset:         92
        .size:           2
        .value_kind:     hidden_group_size_x
      - .offset:         94
        .size:           2
        .value_kind:     hidden_group_size_y
      - .offset:         96
        .size:           2
        .value_kind:     hidden_group_size_z
      - .offset:         98
        .size:           2
        .value_kind:     hidden_remainder_x
      - .offset:         100
        .size:           2
        .value_kind:     hidden_remainder_y
      - .offset:         102
        .size:           2
        .value_kind:     hidden_remainder_z
      - .offset:         120
        .size:           8
        .value_kind:     hidden_global_offset_x
      - .offset:         128
        .size:           8
        .value_kind:     hidden_global_offset_y
      - .offset:         136
        .size:           8
        .value_kind:     hidden_global_offset_z
      - .offset:         144
        .size:           2
        .value_kind:     hidden_grid_dims
    .group_segment_fixed_size: 0
    .kernarg_segment_align: 8
    .kernarg_segment_size: 336
    .language:       OpenCL C
    .language_version:
      - 2
      - 0
    .max_flat_workgroup_size: 1024
    .name:           _ZN4vllm23rotary_embedding_kernelIfLb0ELb0EEEvPKlPT_S4_PKS3_S6_illiii
    .private_segment_fixed_size: 0
    .sgpr_count:     28
    .sgpr_spill_count: 0
    .symbol:         _ZN4vllm23rotary_embedding_kernelIfLb0ELb0EEEvPKlPT_S4_PKS3_S6_illiii.kd
    .uniform_work_group_size: 1
    .uses_dynamic_stack: false
    .vgpr_count:     13
    .vgpr_spill_count: 0
    .wavefront_size: 32
    .workgroup_processor_mode: 1
  - .args:
      - .actual_access:  read_only
        .address_space:  global
        .offset:         0
        .size:           8
        .value_kind:     global_buffer
      - .address_space:  global
        .offset:         8
        .size:           8
        .value_kind:     global_buffer
      - .address_space:  global
        .offset:         16
        .size:           8
        .value_kind:     global_buffer
      - .actual_access:  read_only
        .address_space:  global
        .offset:         24
        .size:           8
        .value_kind:     global_buffer
      - .actual_access:  read_only
        .address_space:  global
        .offset:         32
        .size:           8
        .value_kind:     global_buffer
      - .offset:         40
        .size:           4
        .value_kind:     by_value
      - .offset:         48
        .size:           8
        .value_kind:     by_value
      - .offset:         56
        .size:           8
        .value_kind:     by_value
      - .offset:         64
        .size:           4
        .value_kind:     by_value
      - .offset:         68
        .size:           4
        .value_kind:     by_value
      - .offset:         72
        .size:           4
        .value_kind:     by_value
      - .offset:         80
        .size:           4
        .value_kind:     hidden_block_count_x
      - .offset:         84
        .size:           4
        .value_kind:     hidden_block_count_y
      - .offset:         88
        .size:           4
        .value_kind:     hidden_block_count_z
      - .offset:         92
        .size:           2
        .value_kind:     hidden_group_size_x
      - .offset:         94
        .size:           2
        .value_kind:     hidden_group_size_y
      - .offset:         96
        .size:           2
        .value_kind:     hidden_group_size_z
      - .offset:         98
        .size:           2
        .value_kind:     hidden_remainder_x
      - .offset:         100
        .size:           2
        .value_kind:     hidden_remainder_y
      - .offset:         102
        .size:           2
        .value_kind:     hidden_remainder_z
      - .offset:         120
        .size:           8
        .value_kind:     hidden_global_offset_x
      - .offset:         128
        .size:           8
        .value_kind:     hidden_global_offset_y
      - .offset:         136
        .size:           8
        .value_kind:     hidden_global_offset_z
      - .offset:         144
        .size:           2
        .value_kind:     hidden_grid_dims
    .group_segment_fixed_size: 0
    .kernarg_segment_align: 8
    .kernarg_segment_size: 336
    .language:       OpenCL C
    .language_version:
      - 2
      - 0
    .max_flat_workgroup_size: 1024
    .name:           _ZN4vllm23rotary_embedding_kernelIN3c104HalfELb1ELb1EEEvPKlPT_S6_PKS5_S8_illiii
    .private_segment_fixed_size: 0
    .sgpr_count:     31
    .sgpr_spill_count: 0
    .symbol:         _ZN4vllm23rotary_embedding_kernelIN3c104HalfELb1ELb1EEEvPKlPT_S6_PKS5_S8_illiii.kd
    .uniform_work_group_size: 1
    .uses_dynamic_stack: false
    .vgpr_count:     12
    .vgpr_spill_count: 0
    .wavefront_size: 32
    .workgroup_processor_mode: 1
  - .args:
      - .actual_access:  read_only
        .address_space:  global
        .offset:         0
        .size:           8
        .value_kind:     global_buffer
      - .address_space:  global
        .offset:         8
        .size:           8
        .value_kind:     global_buffer
      - .address_space:  global
        .offset:         16
        .size:           8
        .value_kind:     global_buffer
      - .actual_access:  read_only
        .address_space:  global
        .offset:         24
        .size:           8
        .value_kind:     global_buffer
      - .actual_access:  read_only
        .address_space:  global
        .offset:         32
        .size:           8
        .value_kind:     global_buffer
      - .offset:         40
        .size:           4
        .value_kind:     by_value
      - .offset:         48
        .size:           8
        .value_kind:     by_value
      - .offset:         56
        .size:           8
        .value_kind:     by_value
      - .offset:         64
        .size:           4
        .value_kind:     by_value
      - .offset:         68
        .size:           4
        .value_kind:     by_value
      - .offset:         72
        .size:           4
        .value_kind:     by_value
      - .offset:         80
        .size:           4
        .value_kind:     hidden_block_count_x
      - .offset:         84
        .size:           4
        .value_kind:     hidden_block_count_y
      - .offset:         88
        .size:           4
        .value_kind:     hidden_block_count_z
      - .offset:         92
        .size:           2
        .value_kind:     hidden_group_size_x
      - .offset:         94
        .size:           2
        .value_kind:     hidden_group_size_y
      - .offset:         96
        .size:           2
        .value_kind:     hidden_group_size_z
      - .offset:         98
        .size:           2
        .value_kind:     hidden_remainder_x
      - .offset:         100
        .size:           2
        .value_kind:     hidden_remainder_y
      - .offset:         102
        .size:           2
        .value_kind:     hidden_remainder_z
      - .offset:         120
        .size:           8
        .value_kind:     hidden_global_offset_x
      - .offset:         128
        .size:           8
        .value_kind:     hidden_global_offset_y
      - .offset:         136
        .size:           8
        .value_kind:     hidden_global_offset_z
      - .offset:         144
        .size:           2
        .value_kind:     hidden_grid_dims
    .group_segment_fixed_size: 0
    .kernarg_segment_align: 8
    .kernarg_segment_size: 336
    .language:       OpenCL C
    .language_version:
      - 2
      - 0
    .max_flat_workgroup_size: 1024
    .name:           _ZN4vllm23rotary_embedding_kernelIN3c104HalfELb1ELb0EEEvPKlPT_S6_PKS5_S8_illiii
    .private_segment_fixed_size: 0
    .sgpr_count:     28
    .sgpr_spill_count: 0
    .symbol:         _ZN4vllm23rotary_embedding_kernelIN3c104HalfELb1ELb0EEEvPKlPT_S6_PKS5_S8_illiii.kd
    .uniform_work_group_size: 1
    .uses_dynamic_stack: false
    .vgpr_count:     12
    .vgpr_spill_count: 0
    .wavefront_size: 32
    .workgroup_processor_mode: 1
  - .args:
      - .actual_access:  read_only
        .address_space:  global
        .offset:         0
        .size:           8
        .value_kind:     global_buffer
      - .address_space:  global
        .offset:         8
        .size:           8
        .value_kind:     global_buffer
      - .address_space:  global
        .offset:         16
        .size:           8
        .value_kind:     global_buffer
      - .actual_access:  read_only
        .address_space:  global
        .offset:         24
        .size:           8
        .value_kind:     global_buffer
      - .actual_access:  read_only
        .address_space:  global
        .offset:         32
        .size:           8
        .value_kind:     global_buffer
      - .offset:         40
        .size:           4
        .value_kind:     by_value
      - .offset:         48
        .size:           8
        .value_kind:     by_value
      - .offset:         56
        .size:           8
        .value_kind:     by_value
      - .offset:         64
        .size:           4
        .value_kind:     by_value
      - .offset:         68
        .size:           4
        .value_kind:     by_value
      - .offset:         72
        .size:           4
        .value_kind:     by_value
      - .offset:         80
        .size:           4
        .value_kind:     hidden_block_count_x
      - .offset:         84
        .size:           4
        .value_kind:     hidden_block_count_y
      - .offset:         88
        .size:           4
        .value_kind:     hidden_block_count_z
      - .offset:         92
        .size:           2
        .value_kind:     hidden_group_size_x
      - .offset:         94
        .size:           2
        .value_kind:     hidden_group_size_y
      - .offset:         96
        .size:           2
        .value_kind:     hidden_group_size_z
      - .offset:         98
        .size:           2
        .value_kind:     hidden_remainder_x
      - .offset:         100
        .size:           2
        .value_kind:     hidden_remainder_y
      - .offset:         102
        .size:           2
        .value_kind:     hidden_remainder_z
      - .offset:         120
        .size:           8
        .value_kind:     hidden_global_offset_x
      - .offset:         128
        .size:           8
        .value_kind:     hidden_global_offset_y
      - .offset:         136
        .size:           8
        .value_kind:     hidden_global_offset_z
      - .offset:         144
        .size:           2
        .value_kind:     hidden_grid_dims
    .group_segment_fixed_size: 0
    .kernarg_segment_align: 8
    .kernarg_segment_size: 336
    .language:       OpenCL C
    .language_version:
      - 2
      - 0
    .max_flat_workgroup_size: 1024
    .name:           _ZN4vllm23rotary_embedding_kernelIN3c104HalfELb0ELb1EEEvPKlPT_S6_PKS5_S8_illiii
    .private_segment_fixed_size: 0
    .sgpr_count:     31
    .sgpr_spill_count: 0
    .symbol:         _ZN4vllm23rotary_embedding_kernelIN3c104HalfELb0ELb1EEEvPKlPT_S6_PKS5_S8_illiii.kd
    .uniform_work_group_size: 1
    .uses_dynamic_stack: false
    .vgpr_count:     13
    .vgpr_spill_count: 0
    .wavefront_size: 32
    .workgroup_processor_mode: 1
  - .args:
      - .actual_access:  read_only
        .address_space:  global
        .offset:         0
        .size:           8
        .value_kind:     global_buffer
      - .address_space:  global
        .offset:         8
        .size:           8
        .value_kind:     global_buffer
      - .address_space:  global
        .offset:         16
        .size:           8
        .value_kind:     global_buffer
      - .actual_access:  read_only
        .address_space:  global
        .offset:         24
        .size:           8
        .value_kind:     global_buffer
      - .actual_access:  read_only
        .address_space:  global
        .offset:         32
        .size:           8
        .value_kind:     global_buffer
      - .offset:         40
        .size:           4
        .value_kind:     by_value
      - .offset:         48
        .size:           8
        .value_kind:     by_value
      - .offset:         56
        .size:           8
        .value_kind:     by_value
      - .offset:         64
        .size:           4
        .value_kind:     by_value
      - .offset:         68
        .size:           4
        .value_kind:     by_value
      - .offset:         72
        .size:           4
        .value_kind:     by_value
      - .offset:         80
        .size:           4
        .value_kind:     hidden_block_count_x
      - .offset:         84
        .size:           4
        .value_kind:     hidden_block_count_y
      - .offset:         88
        .size:           4
        .value_kind:     hidden_block_count_z
      - .offset:         92
        .size:           2
        .value_kind:     hidden_group_size_x
      - .offset:         94
        .size:           2
        .value_kind:     hidden_group_size_y
      - .offset:         96
        .size:           2
        .value_kind:     hidden_group_size_z
      - .offset:         98
        .size:           2
        .value_kind:     hidden_remainder_x
      - .offset:         100
        .size:           2
        .value_kind:     hidden_remainder_y
      - .offset:         102
        .size:           2
        .value_kind:     hidden_remainder_z
      - .offset:         120
        .size:           8
        .value_kind:     hidden_global_offset_x
      - .offset:         128
        .size:           8
        .value_kind:     hidden_global_offset_y
      - .offset:         136
        .size:           8
        .value_kind:     hidden_global_offset_z
      - .offset:         144
        .size:           2
        .value_kind:     hidden_grid_dims
    .group_segment_fixed_size: 0
    .kernarg_segment_align: 8
    .kernarg_segment_size: 336
    .language:       OpenCL C
    .language_version:
      - 2
      - 0
    .max_flat_workgroup_size: 1024
    .name:           _ZN4vllm23rotary_embedding_kernelIN3c104HalfELb0ELb0EEEvPKlPT_S6_PKS5_S8_illiii
    .private_segment_fixed_size: 0
    .sgpr_count:     28
    .sgpr_spill_count: 0
    .symbol:         _ZN4vllm23rotary_embedding_kernelIN3c104HalfELb0ELb0EEEvPKlPT_S6_PKS5_S8_illiii.kd
    .uniform_work_group_size: 1
    .uses_dynamic_stack: false
    .vgpr_count:     13
    .vgpr_spill_count: 0
    .wavefront_size: 32
    .workgroup_processor_mode: 1
  - .args:
      - .actual_access:  read_only
        .address_space:  global
        .offset:         0
        .size:           8
        .value_kind:     global_buffer
      - .address_space:  global
        .offset:         8
        .size:           8
        .value_kind:     global_buffer
      - .address_space:  global
        .offset:         16
        .size:           8
        .value_kind:     global_buffer
      - .actual_access:  read_only
        .address_space:  global
        .offset:         24
        .size:           8
        .value_kind:     global_buffer
      - .actual_access:  read_only
        .address_space:  global
        .offset:         32
        .size:           8
        .value_kind:     global_buffer
      - .offset:         40
        .size:           4
        .value_kind:     by_value
      - .offset:         48
        .size:           8
        .value_kind:     by_value
      - .offset:         56
        .size:           8
        .value_kind:     by_value
      - .offset:         64
        .size:           4
        .value_kind:     by_value
      - .offset:         68
        .size:           4
        .value_kind:     by_value
      - .offset:         72
        .size:           4
        .value_kind:     by_value
      - .offset:         80
        .size:           4
        .value_kind:     hidden_block_count_x
      - .offset:         84
        .size:           4
        .value_kind:     hidden_block_count_y
      - .offset:         88
        .size:           4
        .value_kind:     hidden_block_count_z
      - .offset:         92
        .size:           2
        .value_kind:     hidden_group_size_x
      - .offset:         94
        .size:           2
        .value_kind:     hidden_group_size_y
      - .offset:         96
        .size:           2
        .value_kind:     hidden_group_size_z
      - .offset:         98
        .size:           2
        .value_kind:     hidden_remainder_x
      - .offset:         100
        .size:           2
        .value_kind:     hidden_remainder_y
      - .offset:         102
        .size:           2
        .value_kind:     hidden_remainder_z
      - .offset:         120
        .size:           8
        .value_kind:     hidden_global_offset_x
      - .offset:         128
        .size:           8
        .value_kind:     hidden_global_offset_y
      - .offset:         136
        .size:           8
        .value_kind:     hidden_global_offset_z
      - .offset:         144
        .size:           2
        .value_kind:     hidden_grid_dims
    .group_segment_fixed_size: 0
    .kernarg_segment_align: 8
    .kernarg_segment_size: 336
    .language:       OpenCL C
    .language_version:
      - 2
      - 0
    .max_flat_workgroup_size: 1024
    .name:           _ZN4vllm23rotary_embedding_kernelIN3c108BFloat16ELb1ELb1EEEvPKlPT_S6_PKS5_S8_illiii
    .private_segment_fixed_size: 0
    .sgpr_count:     32
    .sgpr_spill_count: 0
    .symbol:         _ZN4vllm23rotary_embedding_kernelIN3c108BFloat16ELb1ELb1EEEvPKlPT_S6_PKS5_S8_illiii.kd
    .uniform_work_group_size: 1
    .uses_dynamic_stack: false
    .vgpr_count:     15
    .vgpr_spill_count: 0
    .wavefront_size: 32
    .workgroup_processor_mode: 1
  - .args:
      - .actual_access:  read_only
        .address_space:  global
        .offset:         0
        .size:           8
        .value_kind:     global_buffer
      - .address_space:  global
        .offset:         8
        .size:           8
        .value_kind:     global_buffer
      - .address_space:  global
        .offset:         16
        .size:           8
        .value_kind:     global_buffer
      - .actual_access:  read_only
        .address_space:  global
        .offset:         24
        .size:           8
        .value_kind:     global_buffer
      - .actual_access:  read_only
        .address_space:  global
        .offset:         32
        .size:           8
        .value_kind:     global_buffer
      - .offset:         40
        .size:           4
        .value_kind:     by_value
      - .offset:         48
        .size:           8
        .value_kind:     by_value
      - .offset:         56
        .size:           8
        .value_kind:     by_value
      - .offset:         64
        .size:           4
        .value_kind:     by_value
      - .offset:         68
        .size:           4
        .value_kind:     by_value
      - .offset:         72
        .size:           4
        .value_kind:     by_value
      - .offset:         80
        .size:           4
        .value_kind:     hidden_block_count_x
      - .offset:         84
        .size:           4
        .value_kind:     hidden_block_count_y
      - .offset:         88
        .size:           4
        .value_kind:     hidden_block_count_z
      - .offset:         92
        .size:           2
        .value_kind:     hidden_group_size_x
      - .offset:         94
        .size:           2
        .value_kind:     hidden_group_size_y
      - .offset:         96
        .size:           2
        .value_kind:     hidden_group_size_z
      - .offset:         98
        .size:           2
        .value_kind:     hidden_remainder_x
      - .offset:         100
        .size:           2
        .value_kind:     hidden_remainder_y
      - .offset:         102
        .size:           2
        .value_kind:     hidden_remainder_z
      - .offset:         120
        .size:           8
        .value_kind:     hidden_global_offset_x
      - .offset:         128
        .size:           8
        .value_kind:     hidden_global_offset_y
      - .offset:         136
        .size:           8
        .value_kind:     hidden_global_offset_z
      - .offset:         144
        .size:           2
        .value_kind:     hidden_grid_dims
    .group_segment_fixed_size: 0
    .kernarg_segment_align: 8
    .kernarg_segment_size: 336
    .language:       OpenCL C
    .language_version:
      - 2
      - 0
    .max_flat_workgroup_size: 1024
    .name:           _ZN4vllm23rotary_embedding_kernelIN3c108BFloat16ELb1ELb0EEEvPKlPT_S6_PKS5_S8_illiii
    .private_segment_fixed_size: 0
    .sgpr_count:     30
    .sgpr_spill_count: 0
    .symbol:         _ZN4vllm23rotary_embedding_kernelIN3c108BFloat16ELb1ELb0EEEvPKlPT_S6_PKS5_S8_illiii.kd
    .uniform_work_group_size: 1
    .uses_dynamic_stack: false
    .vgpr_count:     15
    .vgpr_spill_count: 0
    .wavefront_size: 32
    .workgroup_processor_mode: 1
  - .args:
      - .actual_access:  read_only
        .address_space:  global
        .offset:         0
        .size:           8
        .value_kind:     global_buffer
      - .address_space:  global
        .offset:         8
        .size:           8
        .value_kind:     global_buffer
      - .address_space:  global
        .offset:         16
        .size:           8
        .value_kind:     global_buffer
      - .actual_access:  read_only
        .address_space:  global
        .offset:         24
        .size:           8
        .value_kind:     global_buffer
      - .actual_access:  read_only
        .address_space:  global
        .offset:         32
        .size:           8
        .value_kind:     global_buffer
      - .offset:         40
        .size:           4
        .value_kind:     by_value
      - .offset:         48
        .size:           8
        .value_kind:     by_value
      - .offset:         56
        .size:           8
        .value_kind:     by_value
      - .offset:         64
        .size:           4
        .value_kind:     by_value
      - .offset:         68
        .size:           4
        .value_kind:     by_value
      - .offset:         72
        .size:           4
        .value_kind:     by_value
      - .offset:         80
        .size:           4
        .value_kind:     hidden_block_count_x
      - .offset:         84
        .size:           4
        .value_kind:     hidden_block_count_y
      - .offset:         88
        .size:           4
        .value_kind:     hidden_block_count_z
      - .offset:         92
        .size:           2
        .value_kind:     hidden_group_size_x
      - .offset:         94
        .size:           2
        .value_kind:     hidden_group_size_y
      - .offset:         96
        .size:           2
        .value_kind:     hidden_group_size_z
      - .offset:         98
        .size:           2
        .value_kind:     hidden_remainder_x
      - .offset:         100
        .size:           2
        .value_kind:     hidden_remainder_y
      - .offset:         102
        .size:           2
        .value_kind:     hidden_remainder_z
      - .offset:         120
        .size:           8
        .value_kind:     hidden_global_offset_x
      - .offset:         128
        .size:           8
        .value_kind:     hidden_global_offset_y
      - .offset:         136
        .size:           8
        .value_kind:     hidden_global_offset_z
      - .offset:         144
        .size:           2
        .value_kind:     hidden_grid_dims
    .group_segment_fixed_size: 0
    .kernarg_segment_align: 8
    .kernarg_segment_size: 336
    .language:       OpenCL C
    .language_version:
      - 2
      - 0
    .max_flat_workgroup_size: 1024
    .name:           _ZN4vllm23rotary_embedding_kernelIN3c108BFloat16ELb0ELb1EEEvPKlPT_S6_PKS5_S8_illiii
    .private_segment_fixed_size: 0
    .sgpr_count:     31
    .sgpr_spill_count: 0
    .symbol:         _ZN4vllm23rotary_embedding_kernelIN3c108BFloat16ELb0ELb1EEEvPKlPT_S6_PKS5_S8_illiii.kd
    .uniform_work_group_size: 1
    .uses_dynamic_stack: false
    .vgpr_count:     15
    .vgpr_spill_count: 0
    .wavefront_size: 32
    .workgroup_processor_mode: 1
  - .args:
      - .actual_access:  read_only
        .address_space:  global
        .offset:         0
        .size:           8
        .value_kind:     global_buffer
      - .address_space:  global
        .offset:         8
        .size:           8
        .value_kind:     global_buffer
      - .address_space:  global
        .offset:         16
        .size:           8
        .value_kind:     global_buffer
      - .actual_access:  read_only
        .address_space:  global
        .offset:         24
        .size:           8
        .value_kind:     global_buffer
      - .actual_access:  read_only
        .address_space:  global
        .offset:         32
        .size:           8
        .value_kind:     global_buffer
      - .offset:         40
        .size:           4
        .value_kind:     by_value
      - .offset:         48
        .size:           8
        .value_kind:     by_value
      - .offset:         56
        .size:           8
        .value_kind:     by_value
      - .offset:         64
        .size:           4
        .value_kind:     by_value
      - .offset:         68
        .size:           4
        .value_kind:     by_value
      - .offset:         72
        .size:           4
        .value_kind:     by_value
      - .offset:         80
        .size:           4
        .value_kind:     hidden_block_count_x
      - .offset:         84
        .size:           4
        .value_kind:     hidden_block_count_y
      - .offset:         88
        .size:           4
        .value_kind:     hidden_block_count_z
      - .offset:         92
        .size:           2
        .value_kind:     hidden_group_size_x
      - .offset:         94
        .size:           2
        .value_kind:     hidden_group_size_y
      - .offset:         96
        .size:           2
        .value_kind:     hidden_group_size_z
      - .offset:         98
        .size:           2
        .value_kind:     hidden_remainder_x
      - .offset:         100
        .size:           2
        .value_kind:     hidden_remainder_y
      - .offset:         102
        .size:           2
        .value_kind:     hidden_remainder_z
      - .offset:         120
        .size:           8
        .value_kind:     hidden_global_offset_x
      - .offset:         128
        .size:           8
        .value_kind:     hidden_global_offset_y
      - .offset:         136
        .size:           8
        .value_kind:     hidden_global_offset_z
      - .offset:         144
        .size:           2
        .value_kind:     hidden_grid_dims
    .group_segment_fixed_size: 0
    .kernarg_segment_align: 8
    .kernarg_segment_size: 336
    .language:       OpenCL C
    .language_version:
      - 2
      - 0
    .max_flat_workgroup_size: 1024
    .name:           _ZN4vllm23rotary_embedding_kernelIN3c108BFloat16ELb0ELb0EEEvPKlPT_S6_PKS5_S8_illiii
    .private_segment_fixed_size: 0
    .sgpr_count:     29
    .sgpr_spill_count: 0
    .symbol:         _ZN4vllm23rotary_embedding_kernelIN3c108BFloat16ELb0ELb0EEEvPKlPT_S6_PKS5_S8_illiii.kd
    .uniform_work_group_size: 1
    .uses_dynamic_stack: false
    .vgpr_count:     15
    .vgpr_spill_count: 0
    .wavefront_size: 32
    .workgroup_processor_mode: 1
  - .args:
      - .actual_access:  read_only
        .address_space:  global
        .offset:         0
        .size:           8
        .value_kind:     global_buffer
      - .address_space:  global
        .offset:         8
        .size:           8
        .value_kind:     global_buffer
      - .address_space:  global
        .offset:         16
        .size:           8
        .value_kind:     global_buffer
      - .actual_access:  read_only
        .address_space:  global
        .offset:         24
        .size:           8
        .value_kind:     global_buffer
      - .actual_access:  read_only
        .address_space:  global
        .offset:         32
        .size:           8
        .value_kind:     global_buffer
      - .actual_access:  read_only
        .address_space:  global
        .offset:         40
        .size:           8
        .value_kind:     global_buffer
      - .offset:         48
        .size:           4
        .value_kind:     by_value
      - .offset:         56
        .size:           8
        .value_kind:     by_value
      - .offset:         64
        .size:           8
        .value_kind:     by_value
      - .offset:         72
        .size:           4
        .value_kind:     by_value
      - .offset:         76
        .size:           4
        .value_kind:     by_value
      - .offset:         80
        .size:           4
        .value_kind:     by_value
      - .offset:         88
        .size:           4
        .value_kind:     hidden_block_count_x
      - .offset:         92
        .size:           4
        .value_kind:     hidden_block_count_y
      - .offset:         96
        .size:           4
        .value_kind:     hidden_block_count_z
      - .offset:         100
        .size:           2
        .value_kind:     hidden_group_size_x
      - .offset:         102
        .size:           2
        .value_kind:     hidden_group_size_y
      - .offset:         104
        .size:           2
        .value_kind:     hidden_group_size_z
      - .offset:         106
        .size:           2
        .value_kind:     hidden_remainder_x
      - .offset:         108
        .size:           2
        .value_kind:     hidden_remainder_y
      - .offset:         110
        .size:           2
        .value_kind:     hidden_remainder_z
      - .offset:         128
        .size:           8
        .value_kind:     hidden_global_offset_x
      - .offset:         136
        .size:           8
        .value_kind:     hidden_global_offset_y
      - .offset:         144
        .size:           8
        .value_kind:     hidden_global_offset_z
      - .offset:         152
        .size:           2
        .value_kind:     hidden_grid_dims
    .group_segment_fixed_size: 0
    .kernarg_segment_align: 8
    .kernarg_segment_size: 344
    .language:       OpenCL C
    .language_version:
      - 2
      - 0
    .max_flat_workgroup_size: 1024
    .name:           _ZN4vllm31batched_rotary_embedding_kernelIfLb1ELb1EEEvPKlPT_S4_PKS3_S6_S2_illiii
    .private_segment_fixed_size: 0
    .sgpr_count:     31
    .sgpr_spill_count: 0
    .symbol:         _ZN4vllm31batched_rotary_embedding_kernelIfLb1ELb1EEEvPKlPT_S4_PKS3_S6_S2_illiii.kd
    .uniform_work_group_size: 1
    .uses_dynamic_stack: false
    .vgpr_count:     12
    .vgpr_spill_count: 0
    .wavefront_size: 32
    .workgroup_processor_mode: 1
  - .args:
      - .actual_access:  read_only
        .address_space:  global
        .offset:         0
        .size:           8
        .value_kind:     global_buffer
      - .address_space:  global
        .offset:         8
        .size:           8
        .value_kind:     global_buffer
      - .address_space:  global
        .offset:         16
        .size:           8
        .value_kind:     global_buffer
      - .actual_access:  read_only
        .address_space:  global
        .offset:         24
        .size:           8
        .value_kind:     global_buffer
      - .actual_access:  read_only
        .address_space:  global
        .offset:         32
        .size:           8
        .value_kind:     global_buffer
      - .actual_access:  read_only
        .address_space:  global
        .offset:         40
        .size:           8
        .value_kind:     global_buffer
      - .offset:         48
        .size:           4
        .value_kind:     by_value
      - .offset:         56
        .size:           8
        .value_kind:     by_value
      - .offset:         64
        .size:           8
        .value_kind:     by_value
      - .offset:         72
        .size:           4
        .value_kind:     by_value
      - .offset:         76
        .size:           4
        .value_kind:     by_value
      - .offset:         80
        .size:           4
        .value_kind:     by_value
      - .offset:         88
        .size:           4
        .value_kind:     hidden_block_count_x
      - .offset:         92
        .size:           4
        .value_kind:     hidden_block_count_y
      - .offset:         96
        .size:           4
        .value_kind:     hidden_block_count_z
      - .offset:         100
        .size:           2
        .value_kind:     hidden_group_size_x
      - .offset:         102
        .size:           2
        .value_kind:     hidden_group_size_y
      - .offset:         104
        .size:           2
        .value_kind:     hidden_group_size_z
      - .offset:         106
        .size:           2
        .value_kind:     hidden_remainder_x
      - .offset:         108
        .size:           2
        .value_kind:     hidden_remainder_y
      - .offset:         110
        .size:           2
        .value_kind:     hidden_remainder_z
      - .offset:         128
        .size:           8
        .value_kind:     hidden_global_offset_x
      - .offset:         136
        .size:           8
        .value_kind:     hidden_global_offset_y
      - .offset:         144
        .size:           8
        .value_kind:     hidden_global_offset_z
      - .offset:         152
        .size:           2
        .value_kind:     hidden_grid_dims
    .group_segment_fixed_size: 0
    .kernarg_segment_align: 8
    .kernarg_segment_size: 344
    .language:       OpenCL C
    .language_version:
      - 2
      - 0
    .max_flat_workgroup_size: 1024
    .name:           _ZN4vllm31batched_rotary_embedding_kernelIfLb1ELb0EEEvPKlPT_S4_PKS3_S6_S2_illiii
    .private_segment_fixed_size: 0
    .sgpr_count:     28
    .sgpr_spill_count: 0
    .symbol:         _ZN4vllm31batched_rotary_embedding_kernelIfLb1ELb0EEEvPKlPT_S4_PKS3_S6_S2_illiii.kd
    .uniform_work_group_size: 1
    .uses_dynamic_stack: false
    .vgpr_count:     12
    .vgpr_spill_count: 0
    .wavefront_size: 32
    .workgroup_processor_mode: 1
  - .args:
      - .actual_access:  read_only
        .address_space:  global
        .offset:         0
        .size:           8
        .value_kind:     global_buffer
      - .address_space:  global
        .offset:         8
        .size:           8
        .value_kind:     global_buffer
      - .address_space:  global
        .offset:         16
        .size:           8
        .value_kind:     global_buffer
      - .actual_access:  read_only
        .address_space:  global
        .offset:         24
        .size:           8
        .value_kind:     global_buffer
      - .actual_access:  read_only
        .address_space:  global
        .offset:         32
        .size:           8
        .value_kind:     global_buffer
      - .actual_access:  read_only
        .address_space:  global
        .offset:         40
        .size:           8
        .value_kind:     global_buffer
      - .offset:         48
        .size:           4
        .value_kind:     by_value
      - .offset:         56
        .size:           8
        .value_kind:     by_value
      - .offset:         64
        .size:           8
        .value_kind:     by_value
      - .offset:         72
        .size:           4
        .value_kind:     by_value
      - .offset:         76
        .size:           4
        .value_kind:     by_value
      - .offset:         80
        .size:           4
        .value_kind:     by_value
      - .offset:         88
        .size:           4
        .value_kind:     hidden_block_count_x
      - .offset:         92
        .size:           4
        .value_kind:     hidden_block_count_y
      - .offset:         96
        .size:           4
        .value_kind:     hidden_block_count_z
      - .offset:         100
        .size:           2
        .value_kind:     hidden_group_size_x
      - .offset:         102
        .size:           2
        .value_kind:     hidden_group_size_y
      - .offset:         104
        .size:           2
        .value_kind:     hidden_group_size_z
      - .offset:         106
        .size:           2
        .value_kind:     hidden_remainder_x
      - .offset:         108
        .size:           2
        .value_kind:     hidden_remainder_y
      - .offset:         110
        .size:           2
        .value_kind:     hidden_remainder_z
      - .offset:         128
        .size:           8
        .value_kind:     hidden_global_offset_x
      - .offset:         136
        .size:           8
        .value_kind:     hidden_global_offset_y
      - .offset:         144
        .size:           8
        .value_kind:     hidden_global_offset_z
      - .offset:         152
        .size:           2
        .value_kind:     hidden_grid_dims
    .group_segment_fixed_size: 0
    .kernarg_segment_align: 8
    .kernarg_segment_size: 344
    .language:       OpenCL C
    .language_version:
      - 2
      - 0
    .max_flat_workgroup_size: 1024
    .name:           _ZN4vllm31batched_rotary_embedding_kernelIfLb0ELb1EEEvPKlPT_S4_PKS3_S6_S2_illiii
    .private_segment_fixed_size: 0
    .sgpr_count:     31
    .sgpr_spill_count: 0
    .symbol:         _ZN4vllm31batched_rotary_embedding_kernelIfLb0ELb1EEEvPKlPT_S4_PKS3_S6_S2_illiii.kd
    .uniform_work_group_size: 1
    .uses_dynamic_stack: false
    .vgpr_count:     13
    .vgpr_spill_count: 0
    .wavefront_size: 32
    .workgroup_processor_mode: 1
  - .args:
      - .actual_access:  read_only
        .address_space:  global
        .offset:         0
        .size:           8
        .value_kind:     global_buffer
      - .address_space:  global
        .offset:         8
        .size:           8
        .value_kind:     global_buffer
      - .address_space:  global
        .offset:         16
        .size:           8
        .value_kind:     global_buffer
      - .actual_access:  read_only
        .address_space:  global
        .offset:         24
        .size:           8
        .value_kind:     global_buffer
      - .actual_access:  read_only
        .address_space:  global
        .offset:         32
        .size:           8
        .value_kind:     global_buffer
      - .actual_access:  read_only
        .address_space:  global
        .offset:         40
        .size:           8
        .value_kind:     global_buffer
      - .offset:         48
        .size:           4
        .value_kind:     by_value
      - .offset:         56
        .size:           8
        .value_kind:     by_value
      - .offset:         64
        .size:           8
        .value_kind:     by_value
      - .offset:         72
        .size:           4
        .value_kind:     by_value
      - .offset:         76
        .size:           4
        .value_kind:     by_value
      - .offset:         80
        .size:           4
        .value_kind:     by_value
      - .offset:         88
        .size:           4
        .value_kind:     hidden_block_count_x
      - .offset:         92
        .size:           4
        .value_kind:     hidden_block_count_y
      - .offset:         96
        .size:           4
        .value_kind:     hidden_block_count_z
      - .offset:         100
        .size:           2
        .value_kind:     hidden_group_size_x
      - .offset:         102
        .size:           2
        .value_kind:     hidden_group_size_y
      - .offset:         104
        .size:           2
        .value_kind:     hidden_group_size_z
      - .offset:         106
        .size:           2
        .value_kind:     hidden_remainder_x
      - .offset:         108
        .size:           2
        .value_kind:     hidden_remainder_y
      - .offset:         110
        .size:           2
        .value_kind:     hidden_remainder_z
      - .offset:         128
        .size:           8
        .value_kind:     hidden_global_offset_x
      - .offset:         136
        .size:           8
        .value_kind:     hidden_global_offset_y
      - .offset:         144
        .size:           8
        .value_kind:     hidden_global_offset_z
      - .offset:         152
        .size:           2
        .value_kind:     hidden_grid_dims
    .group_segment_fixed_size: 0
    .kernarg_segment_align: 8
    .kernarg_segment_size: 344
    .language:       OpenCL C
    .language_version:
      - 2
      - 0
    .max_flat_workgroup_size: 1024
    .name:           _ZN4vllm31batched_rotary_embedding_kernelIfLb0ELb0EEEvPKlPT_S4_PKS3_S6_S2_illiii
    .private_segment_fixed_size: 0
    .sgpr_count:     28
    .sgpr_spill_count: 0
    .symbol:         _ZN4vllm31batched_rotary_embedding_kernelIfLb0ELb0EEEvPKlPT_S4_PKS3_S6_S2_illiii.kd
    .uniform_work_group_size: 1
    .uses_dynamic_stack: false
    .vgpr_count:     13
    .vgpr_spill_count: 0
    .wavefront_size: 32
    .workgroup_processor_mode: 1
  - .args:
      - .actual_access:  read_only
        .address_space:  global
        .offset:         0
        .size:           8
        .value_kind:     global_buffer
      - .address_space:  global
        .offset:         8
        .size:           8
        .value_kind:     global_buffer
      - .address_space:  global
        .offset:         16
        .size:           8
        .value_kind:     global_buffer
      - .actual_access:  read_only
        .address_space:  global
        .offset:         24
        .size:           8
        .value_kind:     global_buffer
      - .actual_access:  read_only
        .address_space:  global
        .offset:         32
        .size:           8
        .value_kind:     global_buffer
      - .actual_access:  read_only
        .address_space:  global
        .offset:         40
        .size:           8
        .value_kind:     global_buffer
      - .offset:         48
        .size:           4
        .value_kind:     by_value
      - .offset:         56
        .size:           8
        .value_kind:     by_value
      - .offset:         64
        .size:           8
        .value_kind:     by_value
      - .offset:         72
        .size:           4
        .value_kind:     by_value
      - .offset:         76
        .size:           4
        .value_kind:     by_value
      - .offset:         80
        .size:           4
        .value_kind:     by_value
      - .offset:         88
        .size:           4
        .value_kind:     hidden_block_count_x
      - .offset:         92
        .size:           4
        .value_kind:     hidden_block_count_y
      - .offset:         96
        .size:           4
        .value_kind:     hidden_block_count_z
      - .offset:         100
        .size:           2
        .value_kind:     hidden_group_size_x
      - .offset:         102
        .size:           2
        .value_kind:     hidden_group_size_y
      - .offset:         104
        .size:           2
        .value_kind:     hidden_group_size_z
      - .offset:         106
        .size:           2
        .value_kind:     hidden_remainder_x
      - .offset:         108
        .size:           2
        .value_kind:     hidden_remainder_y
      - .offset:         110
        .size:           2
        .value_kind:     hidden_remainder_z
      - .offset:         128
        .size:           8
        .value_kind:     hidden_global_offset_x
      - .offset:         136
        .size:           8
        .value_kind:     hidden_global_offset_y
      - .offset:         144
        .size:           8
        .value_kind:     hidden_global_offset_z
      - .offset:         152
        .size:           2
        .value_kind:     hidden_grid_dims
    .group_segment_fixed_size: 0
    .kernarg_segment_align: 8
    .kernarg_segment_size: 344
    .language:       OpenCL C
    .language_version:
      - 2
      - 0
    .max_flat_workgroup_size: 1024
    .name:           _ZN4vllm31batched_rotary_embedding_kernelIN3c104HalfELb1ELb1EEEvPKlPT_S6_PKS5_S8_S4_illiii
    .private_segment_fixed_size: 0
    .sgpr_count:     31
    .sgpr_spill_count: 0
    .symbol:         _ZN4vllm31batched_rotary_embedding_kernelIN3c104HalfELb1ELb1EEEvPKlPT_S6_PKS5_S8_S4_illiii.kd
    .uniform_work_group_size: 1
    .uses_dynamic_stack: false
    .vgpr_count:     12
    .vgpr_spill_count: 0
    .wavefront_size: 32
    .workgroup_processor_mode: 1
  - .args:
      - .actual_access:  read_only
        .address_space:  global
        .offset:         0
        .size:           8
        .value_kind:     global_buffer
      - .address_space:  global
        .offset:         8
        .size:           8
        .value_kind:     global_buffer
      - .address_space:  global
        .offset:         16
        .size:           8
        .value_kind:     global_buffer
      - .actual_access:  read_only
        .address_space:  global
        .offset:         24
        .size:           8
        .value_kind:     global_buffer
      - .actual_access:  read_only
        .address_space:  global
        .offset:         32
        .size:           8
        .value_kind:     global_buffer
      - .actual_access:  read_only
        .address_space:  global
        .offset:         40
        .size:           8
        .value_kind:     global_buffer
      - .offset:         48
        .size:           4
        .value_kind:     by_value
      - .offset:         56
        .size:           8
        .value_kind:     by_value
      - .offset:         64
        .size:           8
        .value_kind:     by_value
      - .offset:         72
        .size:           4
        .value_kind:     by_value
      - .offset:         76
        .size:           4
        .value_kind:     by_value
      - .offset:         80
        .size:           4
        .value_kind:     by_value
      - .offset:         88
        .size:           4
        .value_kind:     hidden_block_count_x
      - .offset:         92
        .size:           4
        .value_kind:     hidden_block_count_y
      - .offset:         96
        .size:           4
        .value_kind:     hidden_block_count_z
      - .offset:         100
        .size:           2
        .value_kind:     hidden_group_size_x
      - .offset:         102
        .size:           2
        .value_kind:     hidden_group_size_y
      - .offset:         104
        .size:           2
        .value_kind:     hidden_group_size_z
      - .offset:         106
        .size:           2
        .value_kind:     hidden_remainder_x
      - .offset:         108
        .size:           2
        .value_kind:     hidden_remainder_y
      - .offset:         110
        .size:           2
        .value_kind:     hidden_remainder_z
      - .offset:         128
        .size:           8
        .value_kind:     hidden_global_offset_x
      - .offset:         136
        .size:           8
        .value_kind:     hidden_global_offset_y
      - .offset:         144
        .size:           8
        .value_kind:     hidden_global_offset_z
      - .offset:         152
        .size:           2
        .value_kind:     hidden_grid_dims
    .group_segment_fixed_size: 0
    .kernarg_segment_align: 8
    .kernarg_segment_size: 344
    .language:       OpenCL C
    .language_version:
      - 2
      - 0
    .max_flat_workgroup_size: 1024
    .name:           _ZN4vllm31batched_rotary_embedding_kernelIN3c104HalfELb1ELb0EEEvPKlPT_S6_PKS5_S8_S4_illiii
    .private_segment_fixed_size: 0
    .sgpr_count:     28
    .sgpr_spill_count: 0
    .symbol:         _ZN4vllm31batched_rotary_embedding_kernelIN3c104HalfELb1ELb0EEEvPKlPT_S6_PKS5_S8_S4_illiii.kd
    .uniform_work_group_size: 1
    .uses_dynamic_stack: false
    .vgpr_count:     12
    .vgpr_spill_count: 0
    .wavefront_size: 32
    .workgroup_processor_mode: 1
  - .args:
      - .actual_access:  read_only
        .address_space:  global
        .offset:         0
        .size:           8
        .value_kind:     global_buffer
      - .address_space:  global
        .offset:         8
        .size:           8
        .value_kind:     global_buffer
      - .address_space:  global
        .offset:         16
        .size:           8
        .value_kind:     global_buffer
      - .actual_access:  read_only
        .address_space:  global
        .offset:         24
        .size:           8
        .value_kind:     global_buffer
      - .actual_access:  read_only
        .address_space:  global
        .offset:         32
        .size:           8
        .value_kind:     global_buffer
      - .actual_access:  read_only
        .address_space:  global
        .offset:         40
        .size:           8
        .value_kind:     global_buffer
      - .offset:         48
        .size:           4
        .value_kind:     by_value
      - .offset:         56
        .size:           8
        .value_kind:     by_value
      - .offset:         64
        .size:           8
        .value_kind:     by_value
      - .offset:         72
        .size:           4
        .value_kind:     by_value
      - .offset:         76
        .size:           4
        .value_kind:     by_value
      - .offset:         80
        .size:           4
        .value_kind:     by_value
      - .offset:         88
        .size:           4
        .value_kind:     hidden_block_count_x
      - .offset:         92
        .size:           4
        .value_kind:     hidden_block_count_y
      - .offset:         96
        .size:           4
        .value_kind:     hidden_block_count_z
      - .offset:         100
        .size:           2
        .value_kind:     hidden_group_size_x
      - .offset:         102
        .size:           2
        .value_kind:     hidden_group_size_y
      - .offset:         104
        .size:           2
        .value_kind:     hidden_group_size_z
      - .offset:         106
        .size:           2
        .value_kind:     hidden_remainder_x
      - .offset:         108
        .size:           2
        .value_kind:     hidden_remainder_y
      - .offset:         110
        .size:           2
        .value_kind:     hidden_remainder_z
      - .offset:         128
        .size:           8
        .value_kind:     hidden_global_offset_x
      - .offset:         136
        .size:           8
        .value_kind:     hidden_global_offset_y
      - .offset:         144
        .size:           8
        .value_kind:     hidden_global_offset_z
      - .offset:         152
        .size:           2
        .value_kind:     hidden_grid_dims
    .group_segment_fixed_size: 0
    .kernarg_segment_align: 8
    .kernarg_segment_size: 344
    .language:       OpenCL C
    .language_version:
      - 2
      - 0
    .max_flat_workgroup_size: 1024
    .name:           _ZN4vllm31batched_rotary_embedding_kernelIN3c104HalfELb0ELb1EEEvPKlPT_S6_PKS5_S8_S4_illiii
    .private_segment_fixed_size: 0
    .sgpr_count:     31
    .sgpr_spill_count: 0
    .symbol:         _ZN4vllm31batched_rotary_embedding_kernelIN3c104HalfELb0ELb1EEEvPKlPT_S6_PKS5_S8_S4_illiii.kd
    .uniform_work_group_size: 1
    .uses_dynamic_stack: false
    .vgpr_count:     13
    .vgpr_spill_count: 0
    .wavefront_size: 32
    .workgroup_processor_mode: 1
  - .args:
      - .actual_access:  read_only
        .address_space:  global
        .offset:         0
        .size:           8
        .value_kind:     global_buffer
      - .address_space:  global
        .offset:         8
        .size:           8
        .value_kind:     global_buffer
      - .address_space:  global
        .offset:         16
        .size:           8
        .value_kind:     global_buffer
      - .actual_access:  read_only
        .address_space:  global
        .offset:         24
        .size:           8
        .value_kind:     global_buffer
      - .actual_access:  read_only
        .address_space:  global
        .offset:         32
        .size:           8
        .value_kind:     global_buffer
      - .actual_access:  read_only
        .address_space:  global
        .offset:         40
        .size:           8
        .value_kind:     global_buffer
      - .offset:         48
        .size:           4
        .value_kind:     by_value
      - .offset:         56
        .size:           8
        .value_kind:     by_value
      - .offset:         64
        .size:           8
        .value_kind:     by_value
      - .offset:         72
        .size:           4
        .value_kind:     by_value
      - .offset:         76
        .size:           4
        .value_kind:     by_value
      - .offset:         80
        .size:           4
        .value_kind:     by_value
      - .offset:         88
        .size:           4
        .value_kind:     hidden_block_count_x
      - .offset:         92
        .size:           4
        .value_kind:     hidden_block_count_y
      - .offset:         96
        .size:           4
        .value_kind:     hidden_block_count_z
      - .offset:         100
        .size:           2
        .value_kind:     hidden_group_size_x
      - .offset:         102
        .size:           2
        .value_kind:     hidden_group_size_y
      - .offset:         104
        .size:           2
        .value_kind:     hidden_group_size_z
      - .offset:         106
        .size:           2
        .value_kind:     hidden_remainder_x
      - .offset:         108
        .size:           2
        .value_kind:     hidden_remainder_y
      - .offset:         110
        .size:           2
        .value_kind:     hidden_remainder_z
      - .offset:         128
        .size:           8
        .value_kind:     hidden_global_offset_x
      - .offset:         136
        .size:           8
        .value_kind:     hidden_global_offset_y
      - .offset:         144
        .size:           8
        .value_kind:     hidden_global_offset_z
      - .offset:         152
        .size:           2
        .value_kind:     hidden_grid_dims
    .group_segment_fixed_size: 0
    .kernarg_segment_align: 8
    .kernarg_segment_size: 344
    .language:       OpenCL C
    .language_version:
      - 2
      - 0
    .max_flat_workgroup_size: 1024
    .name:           _ZN4vllm31batched_rotary_embedding_kernelIN3c104HalfELb0ELb0EEEvPKlPT_S6_PKS5_S8_S4_illiii
    .private_segment_fixed_size: 0
    .sgpr_count:     28
    .sgpr_spill_count: 0
    .symbol:         _ZN4vllm31batched_rotary_embedding_kernelIN3c104HalfELb0ELb0EEEvPKlPT_S6_PKS5_S8_S4_illiii.kd
    .uniform_work_group_size: 1
    .uses_dynamic_stack: false
    .vgpr_count:     13
    .vgpr_spill_count: 0
    .wavefront_size: 32
    .workgroup_processor_mode: 1
  - .args:
      - .actual_access:  read_only
        .address_space:  global
        .offset:         0
        .size:           8
        .value_kind:     global_buffer
      - .address_space:  global
        .offset:         8
        .size:           8
        .value_kind:     global_buffer
      - .address_space:  global
        .offset:         16
        .size:           8
        .value_kind:     global_buffer
      - .actual_access:  read_only
        .address_space:  global
        .offset:         24
        .size:           8
        .value_kind:     global_buffer
      - .actual_access:  read_only
        .address_space:  global
        .offset:         32
        .size:           8
        .value_kind:     global_buffer
      - .actual_access:  read_only
        .address_space:  global
        .offset:         40
        .size:           8
        .value_kind:     global_buffer
      - .offset:         48
        .size:           4
        .value_kind:     by_value
      - .offset:         56
        .size:           8
        .value_kind:     by_value
      - .offset:         64
        .size:           8
        .value_kind:     by_value
      - .offset:         72
        .size:           4
        .value_kind:     by_value
      - .offset:         76
        .size:           4
        .value_kind:     by_value
      - .offset:         80
        .size:           4
        .value_kind:     by_value
      - .offset:         88
        .size:           4
        .value_kind:     hidden_block_count_x
      - .offset:         92
        .size:           4
        .value_kind:     hidden_block_count_y
      - .offset:         96
        .size:           4
        .value_kind:     hidden_block_count_z
      - .offset:         100
        .size:           2
        .value_kind:     hidden_group_size_x
      - .offset:         102
        .size:           2
        .value_kind:     hidden_group_size_y
      - .offset:         104
        .size:           2
        .value_kind:     hidden_group_size_z
      - .offset:         106
        .size:           2
        .value_kind:     hidden_remainder_x
      - .offset:         108
        .size:           2
        .value_kind:     hidden_remainder_y
      - .offset:         110
        .size:           2
        .value_kind:     hidden_remainder_z
      - .offset:         128
        .size:           8
        .value_kind:     hidden_global_offset_x
      - .offset:         136
        .size:           8
        .value_kind:     hidden_global_offset_y
      - .offset:         144
        .size:           8
        .value_kind:     hidden_global_offset_z
      - .offset:         152
        .size:           2
        .value_kind:     hidden_grid_dims
    .group_segment_fixed_size: 0
    .kernarg_segment_align: 8
    .kernarg_segment_size: 344
    .language:       OpenCL C
    .language_version:
      - 2
      - 0
    .max_flat_workgroup_size: 1024
    .name:           _ZN4vllm31batched_rotary_embedding_kernelIN3c108BFloat16ELb1ELb1EEEvPKlPT_S6_PKS5_S8_S4_illiii
    .private_segment_fixed_size: 0
    .sgpr_count:     32
    .sgpr_spill_count: 0
    .symbol:         _ZN4vllm31batched_rotary_embedding_kernelIN3c108BFloat16ELb1ELb1EEEvPKlPT_S6_PKS5_S8_S4_illiii.kd
    .uniform_work_group_size: 1
    .uses_dynamic_stack: false
    .vgpr_count:     15
    .vgpr_spill_count: 0
    .wavefront_size: 32
    .workgroup_processor_mode: 1
  - .args:
      - .actual_access:  read_only
        .address_space:  global
        .offset:         0
        .size:           8
        .value_kind:     global_buffer
      - .address_space:  global
        .offset:         8
        .size:           8
        .value_kind:     global_buffer
      - .address_space:  global
        .offset:         16
        .size:           8
        .value_kind:     global_buffer
      - .actual_access:  read_only
        .address_space:  global
        .offset:         24
        .size:           8
        .value_kind:     global_buffer
      - .actual_access:  read_only
        .address_space:  global
        .offset:         32
        .size:           8
        .value_kind:     global_buffer
      - .actual_access:  read_only
        .address_space:  global
        .offset:         40
        .size:           8
        .value_kind:     global_buffer
      - .offset:         48
        .size:           4
        .value_kind:     by_value
      - .offset:         56
        .size:           8
        .value_kind:     by_value
      - .offset:         64
        .size:           8
        .value_kind:     by_value
      - .offset:         72
        .size:           4
        .value_kind:     by_value
      - .offset:         76
        .size:           4
        .value_kind:     by_value
      - .offset:         80
        .size:           4
        .value_kind:     by_value
      - .offset:         88
        .size:           4
        .value_kind:     hidden_block_count_x
      - .offset:         92
        .size:           4
        .value_kind:     hidden_block_count_y
      - .offset:         96
        .size:           4
        .value_kind:     hidden_block_count_z
      - .offset:         100
        .size:           2
        .value_kind:     hidden_group_size_x
      - .offset:         102
        .size:           2
        .value_kind:     hidden_group_size_y
      - .offset:         104
        .size:           2
        .value_kind:     hidden_group_size_z
      - .offset:         106
        .size:           2
        .value_kind:     hidden_remainder_x
      - .offset:         108
        .size:           2
        .value_kind:     hidden_remainder_y
      - .offset:         110
        .size:           2
        .value_kind:     hidden_remainder_z
      - .offset:         128
        .size:           8
        .value_kind:     hidden_global_offset_x
      - .offset:         136
        .size:           8
        .value_kind:     hidden_global_offset_y
      - .offset:         144
        .size:           8
        .value_kind:     hidden_global_offset_z
      - .offset:         152
        .size:           2
        .value_kind:     hidden_grid_dims
    .group_segment_fixed_size: 0
    .kernarg_segment_align: 8
    .kernarg_segment_size: 344
    .language:       OpenCL C
    .language_version:
      - 2
      - 0
    .max_flat_workgroup_size: 1024
    .name:           _ZN4vllm31batched_rotary_embedding_kernelIN3c108BFloat16ELb1ELb0EEEvPKlPT_S6_PKS5_S8_S4_illiii
    .private_segment_fixed_size: 0
    .sgpr_count:     30
    .sgpr_spill_count: 0
    .symbol:         _ZN4vllm31batched_rotary_embedding_kernelIN3c108BFloat16ELb1ELb0EEEvPKlPT_S6_PKS5_S8_S4_illiii.kd
    .uniform_work_group_size: 1
    .uses_dynamic_stack: false
    .vgpr_count:     15
    .vgpr_spill_count: 0
    .wavefront_size: 32
    .workgroup_processor_mode: 1
  - .args:
      - .actual_access:  read_only
        .address_space:  global
        .offset:         0
        .size:           8
        .value_kind:     global_buffer
      - .address_space:  global
        .offset:         8
        .size:           8
        .value_kind:     global_buffer
      - .address_space:  global
        .offset:         16
        .size:           8
        .value_kind:     global_buffer
      - .actual_access:  read_only
        .address_space:  global
        .offset:         24
        .size:           8
        .value_kind:     global_buffer
      - .actual_access:  read_only
        .address_space:  global
        .offset:         32
        .size:           8
        .value_kind:     global_buffer
      - .actual_access:  read_only
        .address_space:  global
        .offset:         40
        .size:           8
        .value_kind:     global_buffer
      - .offset:         48
        .size:           4
        .value_kind:     by_value
      - .offset:         56
        .size:           8
        .value_kind:     by_value
      - .offset:         64
        .size:           8
        .value_kind:     by_value
      - .offset:         72
        .size:           4
        .value_kind:     by_value
      - .offset:         76
        .size:           4
        .value_kind:     by_value
      - .offset:         80
        .size:           4
        .value_kind:     by_value
      - .offset:         88
        .size:           4
        .value_kind:     hidden_block_count_x
      - .offset:         92
        .size:           4
        .value_kind:     hidden_block_count_y
      - .offset:         96
        .size:           4
        .value_kind:     hidden_block_count_z
      - .offset:         100
        .size:           2
        .value_kind:     hidden_group_size_x
      - .offset:         102
        .size:           2
        .value_kind:     hidden_group_size_y
      - .offset:         104
        .size:           2
        .value_kind:     hidden_group_size_z
      - .offset:         106
        .size:           2
        .value_kind:     hidden_remainder_x
      - .offset:         108
        .size:           2
        .value_kind:     hidden_remainder_y
      - .offset:         110
        .size:           2
        .value_kind:     hidden_remainder_z
      - .offset:         128
        .size:           8
        .value_kind:     hidden_global_offset_x
      - .offset:         136
        .size:           8
        .value_kind:     hidden_global_offset_y
      - .offset:         144
        .size:           8
        .value_kind:     hidden_global_offset_z
      - .offset:         152
        .size:           2
        .value_kind:     hidden_grid_dims
    .group_segment_fixed_size: 0
    .kernarg_segment_align: 8
    .kernarg_segment_size: 344
    .language:       OpenCL C
    .language_version:
      - 2
      - 0
    .max_flat_workgroup_size: 1024
    .name:           _ZN4vllm31batched_rotary_embedding_kernelIN3c108BFloat16ELb0ELb1EEEvPKlPT_S6_PKS5_S8_S4_illiii
    .private_segment_fixed_size: 0
    .sgpr_count:     31
    .sgpr_spill_count: 0
    .symbol:         _ZN4vllm31batched_rotary_embedding_kernelIN3c108BFloat16ELb0ELb1EEEvPKlPT_S6_PKS5_S8_S4_illiii.kd
    .uniform_work_group_size: 1
    .uses_dynamic_stack: false
    .vgpr_count:     15
    .vgpr_spill_count: 0
    .wavefront_size: 32
    .workgroup_processor_mode: 1
  - .args:
      - .actual_access:  read_only
        .address_space:  global
        .offset:         0
        .size:           8
        .value_kind:     global_buffer
      - .address_space:  global
        .offset:         8
        .size:           8
        .value_kind:     global_buffer
      - .address_space:  global
        .offset:         16
        .size:           8
        .value_kind:     global_buffer
      - .actual_access:  read_only
        .address_space:  global
        .offset:         24
        .size:           8
        .value_kind:     global_buffer
      - .actual_access:  read_only
        .address_space:  global
        .offset:         32
        .size:           8
        .value_kind:     global_buffer
      - .actual_access:  read_only
        .address_space:  global
        .offset:         40
        .size:           8
        .value_kind:     global_buffer
      - .offset:         48
        .size:           4
        .value_kind:     by_value
      - .offset:         56
        .size:           8
        .value_kind:     by_value
      - .offset:         64
        .size:           8
        .value_kind:     by_value
      - .offset:         72
        .size:           4
        .value_kind:     by_value
      - .offset:         76
        .size:           4
        .value_kind:     by_value
      - .offset:         80
        .size:           4
        .value_kind:     by_value
      - .offset:         88
        .size:           4
        .value_kind:     hidden_block_count_x
      - .offset:         92
        .size:           4
        .value_kind:     hidden_block_count_y
      - .offset:         96
        .size:           4
        .value_kind:     hidden_block_count_z
      - .offset:         100
        .size:           2
        .value_kind:     hidden_group_size_x
      - .offset:         102
        .size:           2
        .value_kind:     hidden_group_size_y
      - .offset:         104
        .size:           2
        .value_kind:     hidden_group_size_z
      - .offset:         106
        .size:           2
        .value_kind:     hidden_remainder_x
      - .offset:         108
        .size:           2
        .value_kind:     hidden_remainder_y
      - .offset:         110
        .size:           2
        .value_kind:     hidden_remainder_z
      - .offset:         128
        .size:           8
        .value_kind:     hidden_global_offset_x
      - .offset:         136
        .size:           8
        .value_kind:     hidden_global_offset_y
      - .offset:         144
        .size:           8
        .value_kind:     hidden_global_offset_z
      - .offset:         152
        .size:           2
        .value_kind:     hidden_grid_dims
    .group_segment_fixed_size: 0
    .kernarg_segment_align: 8
    .kernarg_segment_size: 344
    .language:       OpenCL C
    .language_version:
      - 2
      - 0
    .max_flat_workgroup_size: 1024
    .name:           _ZN4vllm31batched_rotary_embedding_kernelIN3c108BFloat16ELb0ELb0EEEvPKlPT_S6_PKS5_S8_S4_illiii
    .private_segment_fixed_size: 0
    .sgpr_count:     29
    .sgpr_spill_count: 0
    .symbol:         _ZN4vllm31batched_rotary_embedding_kernelIN3c108BFloat16ELb0ELb0EEEvPKlPT_S6_PKS5_S8_S4_illiii.kd
    .uniform_work_group_size: 1
    .uses_dynamic_stack: false
    .vgpr_count:     15
    .vgpr_spill_count: 0
    .wavefront_size: 32
    .workgroup_processor_mode: 1
amdhsa.target:   amdgcn-amd-amdhsa--gfx1100
amdhsa.version:
  - 1
  - 2
...

	.end_amdgpu_metadata
